;; amdgpu-corpus repo=ROCm/rocFFT kind=compiled arch=gfx1030 opt=O3
	.text
	.amdgcn_target "amdgcn-amd-amdhsa--gfx1030"
	.amdhsa_code_object_version 6
	.protected	fft_rtc_fwd_len1521_factors_13_3_3_13_wgs_117_tpt_117_halfLds_dp_ip_CI_sbrr_dirReg ; -- Begin function fft_rtc_fwd_len1521_factors_13_3_3_13_wgs_117_tpt_117_halfLds_dp_ip_CI_sbrr_dirReg
	.globl	fft_rtc_fwd_len1521_factors_13_3_3_13_wgs_117_tpt_117_halfLds_dp_ip_CI_sbrr_dirReg
	.p2align	8
	.type	fft_rtc_fwd_len1521_factors_13_3_3_13_wgs_117_tpt_117_halfLds_dp_ip_CI_sbrr_dirReg,@function
fft_rtc_fwd_len1521_factors_13_3_3_13_wgs_117_tpt_117_halfLds_dp_ip_CI_sbrr_dirReg: ; @fft_rtc_fwd_len1521_factors_13_3_3_13_wgs_117_tpt_117_halfLds_dp_ip_CI_sbrr_dirReg
; %bb.0:
	s_clause 0x2
	s_load_dwordx2 s[14:15], s[4:5], 0x18
	s_load_dwordx4 s[8:11], s[4:5], 0x0
	s_load_dwordx2 s[12:13], s[4:5], 0x50
	v_mul_u32_u24_e32 v1, 0x231, v0
	v_mov_b32_e32 v3, 0
	v_add_nc_u32_sdwa v5, s6, v1 dst_sel:DWORD dst_unused:UNUSED_PAD src0_sel:DWORD src1_sel:WORD_1
	v_mov_b32_e32 v1, 0
	v_mov_b32_e32 v6, v3
	v_mov_b32_e32 v2, 0
	s_waitcnt lgkmcnt(0)
	s_load_dwordx2 s[2:3], s[14:15], 0x0
	v_cmp_lt_u64_e64 s0, s[10:11], 2
	s_and_b32 vcc_lo, exec_lo, s0
	s_cbranch_vccnz .LBB0_8
; %bb.1:
	s_load_dwordx2 s[0:1], s[4:5], 0x10
	v_mov_b32_e32 v1, 0
	s_add_u32 s6, s14, 8
	v_mov_b32_e32 v2, 0
	s_addc_u32 s7, s15, 0
	s_mov_b64 s[18:19], 1
	s_waitcnt lgkmcnt(0)
	s_add_u32 s16, s0, 8
	s_addc_u32 s17, s1, 0
.LBB0_2:                                ; =>This Inner Loop Header: Depth=1
	s_load_dwordx2 s[20:21], s[16:17], 0x0
                                        ; implicit-def: $vgpr7_vgpr8
	s_mov_b32 s0, exec_lo
	s_waitcnt lgkmcnt(0)
	v_or_b32_e32 v4, s21, v6
	v_cmpx_ne_u64_e32 0, v[3:4]
	s_xor_b32 s1, exec_lo, s0
	s_cbranch_execz .LBB0_4
; %bb.3:                                ;   in Loop: Header=BB0_2 Depth=1
	v_cvt_f32_u32_e32 v4, s20
	v_cvt_f32_u32_e32 v7, s21
	s_sub_u32 s0, 0, s20
	s_subb_u32 s22, 0, s21
	v_fmac_f32_e32 v4, 0x4f800000, v7
	v_rcp_f32_e32 v4, v4
	v_mul_f32_e32 v4, 0x5f7ffffc, v4
	v_mul_f32_e32 v7, 0x2f800000, v4
	v_trunc_f32_e32 v7, v7
	v_fmac_f32_e32 v4, 0xcf800000, v7
	v_cvt_u32_f32_e32 v7, v7
	v_cvt_u32_f32_e32 v4, v4
	v_mul_lo_u32 v8, s0, v7
	v_mul_hi_u32 v9, s0, v4
	v_mul_lo_u32 v10, s22, v4
	v_add_nc_u32_e32 v8, v9, v8
	v_mul_lo_u32 v9, s0, v4
	v_add_nc_u32_e32 v8, v8, v10
	v_mul_hi_u32 v10, v4, v9
	v_mul_lo_u32 v11, v4, v8
	v_mul_hi_u32 v12, v4, v8
	v_mul_hi_u32 v13, v7, v9
	v_mul_lo_u32 v9, v7, v9
	v_mul_hi_u32 v14, v7, v8
	v_mul_lo_u32 v8, v7, v8
	v_add_co_u32 v10, vcc_lo, v10, v11
	v_add_co_ci_u32_e32 v11, vcc_lo, 0, v12, vcc_lo
	v_add_co_u32 v9, vcc_lo, v10, v9
	v_add_co_ci_u32_e32 v9, vcc_lo, v11, v13, vcc_lo
	v_add_co_ci_u32_e32 v10, vcc_lo, 0, v14, vcc_lo
	v_add_co_u32 v8, vcc_lo, v9, v8
	v_add_co_ci_u32_e32 v9, vcc_lo, 0, v10, vcc_lo
	v_add_co_u32 v4, vcc_lo, v4, v8
	v_add_co_ci_u32_e32 v7, vcc_lo, v7, v9, vcc_lo
	v_mul_hi_u32 v8, s0, v4
	v_mul_lo_u32 v10, s22, v4
	v_mul_lo_u32 v9, s0, v7
	v_add_nc_u32_e32 v8, v8, v9
	v_mul_lo_u32 v9, s0, v4
	v_add_nc_u32_e32 v8, v8, v10
	v_mul_hi_u32 v10, v4, v9
	v_mul_lo_u32 v11, v4, v8
	v_mul_hi_u32 v12, v4, v8
	v_mul_hi_u32 v13, v7, v9
	v_mul_lo_u32 v9, v7, v9
	v_mul_hi_u32 v14, v7, v8
	v_mul_lo_u32 v8, v7, v8
	v_add_co_u32 v10, vcc_lo, v10, v11
	v_add_co_ci_u32_e32 v11, vcc_lo, 0, v12, vcc_lo
	v_add_co_u32 v9, vcc_lo, v10, v9
	v_add_co_ci_u32_e32 v9, vcc_lo, v11, v13, vcc_lo
	v_add_co_ci_u32_e32 v10, vcc_lo, 0, v14, vcc_lo
	v_add_co_u32 v8, vcc_lo, v9, v8
	v_add_co_ci_u32_e32 v9, vcc_lo, 0, v10, vcc_lo
	v_add_co_u32 v4, vcc_lo, v4, v8
	v_add_co_ci_u32_e32 v11, vcc_lo, v7, v9, vcc_lo
	v_mul_hi_u32 v13, v5, v4
	v_mad_u64_u32 v[9:10], null, v6, v4, 0
	v_mad_u64_u32 v[7:8], null, v5, v11, 0
	;; [unrolled: 1-line block ×3, first 2 shown]
	v_add_co_u32 v4, vcc_lo, v13, v7
	v_add_co_ci_u32_e32 v7, vcc_lo, 0, v8, vcc_lo
	v_add_co_u32 v4, vcc_lo, v4, v9
	v_add_co_ci_u32_e32 v4, vcc_lo, v7, v10, vcc_lo
	v_add_co_ci_u32_e32 v7, vcc_lo, 0, v12, vcc_lo
	v_add_co_u32 v4, vcc_lo, v4, v11
	v_add_co_ci_u32_e32 v9, vcc_lo, 0, v7, vcc_lo
	v_mul_lo_u32 v10, s21, v4
	v_mad_u64_u32 v[7:8], null, s20, v4, 0
	v_mul_lo_u32 v11, s20, v9
	v_sub_co_u32 v7, vcc_lo, v5, v7
	v_add3_u32 v8, v8, v11, v10
	v_sub_nc_u32_e32 v10, v6, v8
	v_subrev_co_ci_u32_e64 v10, s0, s21, v10, vcc_lo
	v_add_co_u32 v11, s0, v4, 2
	v_add_co_ci_u32_e64 v12, s0, 0, v9, s0
	v_sub_co_u32 v13, s0, v7, s20
	v_sub_co_ci_u32_e32 v8, vcc_lo, v6, v8, vcc_lo
	v_subrev_co_ci_u32_e64 v10, s0, 0, v10, s0
	v_cmp_le_u32_e32 vcc_lo, s20, v13
	v_cmp_eq_u32_e64 s0, s21, v8
	v_cndmask_b32_e64 v13, 0, -1, vcc_lo
	v_cmp_le_u32_e32 vcc_lo, s21, v10
	v_cndmask_b32_e64 v14, 0, -1, vcc_lo
	v_cmp_le_u32_e32 vcc_lo, s20, v7
	;; [unrolled: 2-line block ×3, first 2 shown]
	v_cndmask_b32_e64 v15, 0, -1, vcc_lo
	v_cmp_eq_u32_e32 vcc_lo, s21, v10
	v_cndmask_b32_e64 v7, v15, v7, s0
	v_cndmask_b32_e32 v10, v14, v13, vcc_lo
	v_add_co_u32 v13, vcc_lo, v4, 1
	v_add_co_ci_u32_e32 v14, vcc_lo, 0, v9, vcc_lo
	v_cmp_ne_u32_e32 vcc_lo, 0, v10
	v_cndmask_b32_e32 v8, v14, v12, vcc_lo
	v_cndmask_b32_e32 v10, v13, v11, vcc_lo
	v_cmp_ne_u32_e32 vcc_lo, 0, v7
	v_cndmask_b32_e32 v8, v9, v8, vcc_lo
	v_cndmask_b32_e32 v7, v4, v10, vcc_lo
.LBB0_4:                                ;   in Loop: Header=BB0_2 Depth=1
	s_andn2_saveexec_b32 s0, s1
	s_cbranch_execz .LBB0_6
; %bb.5:                                ;   in Loop: Header=BB0_2 Depth=1
	v_cvt_f32_u32_e32 v4, s20
	s_sub_i32 s1, 0, s20
	v_rcp_iflag_f32_e32 v4, v4
	v_mul_f32_e32 v4, 0x4f7ffffe, v4
	v_cvt_u32_f32_e32 v4, v4
	v_mul_lo_u32 v7, s1, v4
	v_mul_hi_u32 v7, v4, v7
	v_add_nc_u32_e32 v4, v4, v7
	v_mul_hi_u32 v4, v5, v4
	v_mul_lo_u32 v7, v4, s20
	v_add_nc_u32_e32 v8, 1, v4
	v_sub_nc_u32_e32 v7, v5, v7
	v_subrev_nc_u32_e32 v9, s20, v7
	v_cmp_le_u32_e32 vcc_lo, s20, v7
	v_cndmask_b32_e32 v7, v7, v9, vcc_lo
	v_cndmask_b32_e32 v4, v4, v8, vcc_lo
	v_cmp_le_u32_e32 vcc_lo, s20, v7
	v_add_nc_u32_e32 v8, 1, v4
	v_cndmask_b32_e32 v7, v4, v8, vcc_lo
	v_mov_b32_e32 v8, v3
.LBB0_6:                                ;   in Loop: Header=BB0_2 Depth=1
	s_or_b32 exec_lo, exec_lo, s0
	s_load_dwordx2 s[0:1], s[6:7], 0x0
	v_mul_lo_u32 v4, v8, s20
	v_mul_lo_u32 v11, v7, s21
	v_mad_u64_u32 v[9:10], null, v7, s20, 0
	s_add_u32 s18, s18, 1
	s_addc_u32 s19, s19, 0
	s_add_u32 s6, s6, 8
	s_addc_u32 s7, s7, 0
	;; [unrolled: 2-line block ×3, first 2 shown]
	v_add3_u32 v4, v10, v11, v4
	v_sub_co_u32 v5, vcc_lo, v5, v9
	v_sub_co_ci_u32_e32 v4, vcc_lo, v6, v4, vcc_lo
	s_waitcnt lgkmcnt(0)
	v_mul_lo_u32 v6, s1, v5
	v_mul_lo_u32 v4, s0, v4
	v_mad_u64_u32 v[1:2], null, s0, v5, v[1:2]
	v_cmp_ge_u64_e64 s0, s[18:19], s[10:11]
	s_and_b32 vcc_lo, exec_lo, s0
	v_add3_u32 v2, v6, v2, v4
	s_cbranch_vccnz .LBB0_9
; %bb.7:                                ;   in Loop: Header=BB0_2 Depth=1
	v_mov_b32_e32 v5, v7
	v_mov_b32_e32 v6, v8
	s_branch .LBB0_2
.LBB0_8:
	v_mov_b32_e32 v8, v6
	v_mov_b32_e32 v7, v5
.LBB0_9:
	s_lshl_b64 s[0:1], s[10:11], 3
	v_mul_hi_u32 v3, 0x2302303, v0
	s_add_u32 s0, s14, s0
	s_addc_u32 s1, s15, s1
	s_load_dwordx2 s[4:5], s[4:5], 0x20
	s_load_dwordx2 s[0:1], s[0:1], 0x0
	v_mul_u32_u24_e32 v3, 0x75, v3
	v_sub_nc_u32_e32 v93, v0, v3
	v_add_nc_u32_e32 v95, 0x75, v93
	v_add_nc_u32_e32 v97, 0xea, v93
	;; [unrolled: 1-line block ×4, first 2 shown]
	s_waitcnt lgkmcnt(0)
	v_cmp_gt_u64_e32 vcc_lo, s[4:5], v[7:8]
	v_mul_lo_u32 v3, s0, v8
	v_mul_lo_u32 v4, s1, v7
	v_mad_u64_u32 v[0:1], null, s0, v7, v[1:2]
	v_cmp_le_u64_e64 s0, s[4:5], v[7:8]
                                        ; implicit-def: $sgpr4
	v_add3_u32 v1, v4, v1, v3
	s_and_saveexec_b32 s1, s0
	s_xor_b32 s0, exec_lo, s1
; %bb.10:
	v_add_nc_u32_e32 v95, 0x75, v93
	v_add_nc_u32_e32 v97, 0xea, v93
	;; [unrolled: 1-line block ×4, first 2 shown]
	s_mov_b32 s4, 0
; %bb.11:
	s_or_saveexec_b32 s1, s0
	v_lshlrev_b64 v[68:69], 4, v[0:1]
	v_mov_b32_e32 v92, s4
                                        ; implicit-def: $vgpr6_vgpr7
                                        ; implicit-def: $vgpr10_vgpr11
                                        ; implicit-def: $vgpr18_vgpr19
                                        ; implicit-def: $vgpr22_vgpr23
                                        ; implicit-def: $vgpr26_vgpr27
                                        ; implicit-def: $vgpr30_vgpr31
                                        ; implicit-def: $vgpr34_vgpr35
                                        ; implicit-def: $vgpr14_vgpr15
                                        ; implicit-def: $vgpr42_vgpr43
                                        ; implicit-def: $vgpr38_vgpr39
                                        ; implicit-def: $vgpr50_vgpr51
                                        ; implicit-def: $vgpr46_vgpr47
                                        ; implicit-def: $vgpr2_vgpr3
	s_xor_b32 exec_lo, exec_lo, s1
	s_cbranch_execz .LBB0_13
; %bb.12:
	v_mad_u64_u32 v[0:1], null, s2, v93, 0
	v_mad_u64_u32 v[2:3], null, s2, v95, 0
	v_add_co_u32 v25, s0, s12, v68
	v_add_co_ci_u32_e64 v26, s0, s13, v69, s0
	v_add_nc_u32_e32 v17, 0x249, v93
	v_add_nc_u32_e32 v19, 0x333, v93
	v_mad_u64_u32 v[4:5], null, s3, v93, v[1:2]
	v_mad_u64_u32 v[5:6], null, s2, v97, 0
	v_add_nc_u32_e32 v23, 0x492, v93
	v_add_nc_u32_e32 v27, 0x507, v93
	v_add_nc_u32_e32 v52, 0x57c, v93
	v_mov_b32_e32 v92, v93
	v_mad_u64_u32 v[7:8], null, s3, v95, v[3:4]
	v_mad_u64_u32 v[8:9], null, s2, v96, 0
	v_mov_b32_e32 v1, v4
	v_mov_b32_e32 v4, v6
	v_mad_u64_u32 v[21:22], null, s2, v27, 0
	v_mov_b32_e32 v3, v7
	v_lshlrev_b64 v[0:1], 4, v[0:1]
	v_mov_b32_e32 v6, v9
	v_mad_u64_u32 v[9:10], null, s3, v97, v[4:5]
	v_lshlrev_b64 v[2:3], 4, v[2:3]
	v_mad_u64_u32 v[12:13], null, s3, v96, v[6:7]
	v_add_co_u32 v0, s0, v25, v0
	v_mad_u64_u32 v[13:14], null, s2, v94, 0
	v_add_co_ci_u32_e64 v1, s0, v26, v1, s0
	v_add_co_u32 v10, s0, v25, v2
	v_mov_b32_e32 v6, v9
	v_mov_b32_e32 v9, v12
	v_add_co_ci_u32_e64 v11, s0, v26, v3, s0
	s_clause 0x1
	global_load_dwordx4 v[0:3], v[0:1], off
	global_load_dwordx4 v[44:47], v[10:11], off
	v_lshlrev_b64 v[4:5], 4, v[5:6]
	v_lshlrev_b64 v[7:8], 4, v[8:9]
	v_mov_b32_e32 v6, v14
	v_mad_u64_u32 v[10:11], null, s2, v17, 0
	v_add_nc_u32_e32 v9, 0x2be, v93
	v_add_co_u32 v4, s0, v25, v4
	v_mad_u64_u32 v[14:15], null, s3, v94, v[6:7]
	v_mad_u64_u32 v[15:16], null, s2, v9, 0
	v_add_co_ci_u32_e64 v5, s0, v26, v5, s0
	v_mov_b32_e32 v6, v11
	v_add_co_u32 v7, s0, v25, v7
	v_add_co_ci_u32_e64 v8, s0, v26, v8, s0
	s_clause 0x1
	global_load_dwordx4 v[48:51], v[4:5], off
	global_load_dwordx4 v[36:39], v[7:8], off
	v_mad_u64_u32 v[11:12], null, s3, v17, v[6:7]
	v_mad_u64_u32 v[17:18], null, s2, v19, 0
	v_mov_b32_e32 v6, v16
	v_lshlrev_b64 v[4:5], 4, v[13:14]
	v_mad_u64_u32 v[6:7], null, s3, v9, v[6:7]
	v_lshlrev_b64 v[8:9], 4, v[10:11]
	v_mov_b32_e32 v7, v18
	v_add_nc_u32_e32 v11, 0x3a8, v93
	v_add_co_u32 v4, s0, v25, v4
	v_add_co_ci_u32_e64 v5, s0, v26, v5, s0
	v_mov_b32_e32 v16, v6
	v_mad_u64_u32 v[6:7], null, s3, v19, v[7:8]
	v_mad_u64_u32 v[19:20], null, s2, v11, 0
	v_add_co_u32 v7, s0, v25, v8
	v_add_co_ci_u32_e64 v8, s0, v26, v9, s0
	v_mov_b32_e32 v18, v6
	v_lshlrev_b64 v[9:10], 4, v[15:16]
	s_clause 0x1
	global_load_dwordx4 v[40:43], v[4:5], off
	global_load_dwordx4 v[12:15], v[7:8], off
	v_mov_b32_e32 v6, v20
	v_lshlrev_b64 v[7:8], 4, v[17:18]
	v_add_nc_u32_e32 v18, 0x41d, v93
	v_add_co_u32 v4, s0, v25, v9
	v_add_co_ci_u32_e64 v5, s0, v26, v10, s0
	v_mad_u64_u32 v[9:10], null, s3, v11, v[6:7]
	v_mad_u64_u32 v[10:11], null, s2, v18, 0
	;; [unrolled: 1-line block ×3, first 2 shown]
	v_add_co_u32 v6, s0, v25, v7
	v_add_co_ci_u32_e64 v7, s0, v26, v8, s0
	v_mov_b32_e32 v20, v9
	v_mov_b32_e32 v8, v11
	;; [unrolled: 1-line block ×3, first 2 shown]
	s_clause 0x1
	global_load_dwordx4 v[32:35], v[4:5], off
	global_load_dwordx4 v[28:31], v[6:7], off
	v_mov_b32_e32 v4, v22
	v_lshlrev_b64 v[5:6], 4, v[19:20]
	v_mad_u64_u32 v[17:18], null, s3, v18, v[8:9]
	v_mad_u64_u32 v[8:9], null, s3, v23, v[9:10]
	;; [unrolled: 1-line block ×3, first 2 shown]
	v_mov_b32_e32 v11, v17
	v_mov_b32_e32 v17, v8
	v_mad_u64_u32 v[7:8], null, s3, v27, v[4:5]
	v_mov_b32_e32 v4, v24
	v_add_co_u32 v5, s0, v25, v5
	v_lshlrev_b64 v[8:9], 4, v[10:11]
	v_lshlrev_b64 v[16:17], 4, v[16:17]
	v_add_co_ci_u32_e64 v6, s0, v26, v6, s0
	v_mad_u64_u32 v[10:11], null, s3, v52, v[4:5]
	v_mov_b32_e32 v22, v7
	v_add_co_u32 v7, s0, v25, v8
	v_add_co_ci_u32_e64 v8, s0, v26, v9, s0
	v_lshlrev_b64 v[18:19], 4, v[21:22]
	v_mov_b32_e32 v24, v10
	v_add_co_u32 v9, s0, v25, v16
	v_add_co_ci_u32_e64 v10, s0, v26, v17, s0
	v_lshlrev_b64 v[16:17], 4, v[23:24]
	v_add_co_u32 v52, s0, v25, v18
	v_add_co_ci_u32_e64 v53, s0, v26, v19, s0
	v_add_co_u32 v54, s0, v25, v16
	v_add_co_ci_u32_e64 v55, s0, v26, v17, s0
	s_clause 0x4
	global_load_dwordx4 v[24:27], v[5:6], off
	global_load_dwordx4 v[20:23], v[7:8], off
	;; [unrolled: 1-line block ×5, first 2 shown]
.LBB0_13:
	s_or_b32 exec_lo, exec_lo, s1
	s_waitcnt vmcnt(11)
	v_add_f64 v[54:55], v[44:45], v[0:1]
	s_waitcnt vmcnt(0)
	v_add_f64 v[52:53], v[4:5], v[44:45]
	s_mov_b32 s4, 0x1ea71119
	s_mov_b32 s10, 0xebaa3ed8
	;; [unrolled: 1-line block ×4, first 2 shown]
	v_add_f64 v[56:57], v[46:47], -v[6:7]
	v_add_f64 v[58:59], v[8:9], v[48:49]
	s_mov_b32 s6, 0x42a4c3d2
	s_mov_b32 s14, 0xb2365da1
	s_mov_b32 s22, 0x66966769
	s_mov_b32 s20, 0x93053d00
	s_mov_b32 s7, 0x3fea55e2
	s_mov_b32 s15, 0xbfd6b1d8
	s_mov_b32 s23, 0x3fefc445
	s_mov_b32 s21, 0xbfef11f4
	v_add_f64 v[60:61], v[50:51], -v[10:11]
	v_add_f64 v[66:67], v[16:17], v[36:37]
	s_mov_b32 s16, 0xd0032e0c
	s_mov_b32 s34, 0x2ef20147
	;; [unrolled: 1-line block ×4, first 2 shown]
	v_add_f64 v[54:55], v[48:49], v[54:55]
	v_mul_f64 v[62:63], v[52:53], s[4:5]
	v_mul_f64 v[64:65], v[52:53], s[10:11]
	;; [unrolled: 1-line block ×3, first 2 shown]
	s_mov_b32 s35, 0x3fedeba7
	s_mov_b32 s29, 0x3fcea1e5
	v_mul_f64 v[108:109], v[52:53], s[16:17]
	v_mul_f64 v[78:79], v[58:59], s[14:15]
	;; [unrolled: 1-line block ×3, first 2 shown]
	v_add_f64 v[70:71], v[38:39], -v[18:19]
	v_add_f64 v[72:73], v[20:21], v[40:41]
	s_mov_b32 s18, 0xe00740e9
	v_mul_f64 v[114:115], v[58:59], s[16:17]
	v_mul_f64 v[124:125], v[52:53], s[20:21]
	s_mov_b32 s19, 0x3fec55a7
	s_mov_b32 s36, 0x24c2f84
	v_mul_f64 v[52:53], v[52:53], s[18:19]
	v_mul_f64 v[100:101], v[66:67], s[20:21]
	s_mov_b32 s37, 0x3fe5384d
	s_mov_b32 s27, 0xbfe5384d
	;; [unrolled: 1-line block ×4, first 2 shown]
	v_add_f64 v[54:55], v[36:37], v[54:55]
	v_fma_f64 v[82:83], v[56:57], s[6:7], v[62:63]
	v_fma_f64 v[84:85], v[56:57], s[22:23], v[64:65]
	;; [unrolled: 1-line block ×3, first 2 shown]
	s_mov_b32 s40, s28
	s_mov_b32 s25, 0xbfedeba7
	;; [unrolled: 1-line block ×3, first 2 shown]
	v_fma_f64 v[110:111], v[60:61], s[34:35], v[78:79]
	v_fma_f64 v[112:113], v[60:61], s[28:29], v[80:81]
	v_mul_f64 v[128:129], v[58:59], s[10:11]
	v_fma_f64 v[148:149], v[56:57], s[36:37], v[108:109]
	v_add_f64 v[74:75], v[42:43], -v[22:23]
	s_mov_b32 s30, 0x4267c47c
	s_mov_b32 s39, 0xbfefc445
	;; [unrolled: 1-line block ×5, first 2 shown]
	v_mul_f64 v[104:105], v[72:73], s[16:17]
	v_mul_f64 v[140:141], v[58:59], s[18:19]
	v_fma_f64 v[144:145], v[70:71], s[28:29], v[100:101]
	v_fma_f64 v[150:151], v[56:57], s[28:29], v[124:125]
	;; [unrolled: 1-line block ×3, first 2 shown]
	v_add_f64 v[54:55], v[40:41], v[54:55]
	v_add_f64 v[82:83], v[0:1], v[82:83]
	;; [unrolled: 1-line block ×3, first 2 shown]
	s_mov_b32 s31, 0x3fddbe06
	s_mov_b32 s45, 0xbfddbe06
	;; [unrolled: 1-line block ×3, first 2 shown]
	v_fma_f64 v[88:89], v[56:57], s[24:25], v[88:89]
	v_fma_f64 v[108:109], v[56:57], s[26:27], v[108:109]
	;; [unrolled: 1-line block ×4, first 2 shown]
	v_mul_f64 v[58:59], v[58:59], s[4:5]
	v_fma_f64 v[164:165], v[56:57], s[30:31], v[52:53]
	v_fma_f64 v[52:53], v[56:57], s[44:45], v[52:53]
	v_mul_f64 v[102:103], v[66:67], s[14:15]
	v_mul_f64 v[130:131], v[66:67], s[18:19]
	;; [unrolled: 1-line block ×3, first 2 shown]
	v_fma_f64 v[160:161], v[60:61], s[38:39], v[128:129]
	v_add_f64 v[148:149], v[0:1], v[148:149]
	v_mul_f64 v[142:143], v[66:67], s[16:17]
	v_fma_f64 v[152:153], v[74:75], s[26:27], v[104:105]
	v_add_f64 v[56:57], v[0:1], v[150:151]
	v_add_f64 v[124:125], v[0:1], v[124:125]
	;; [unrolled: 1-line block ×5, first 2 shown]
	v_fma_f64 v[110:111], v[60:61], s[26:27], v[114:115]
	v_add_f64 v[112:113], v[0:1], v[116:117]
	v_fma_f64 v[114:115], v[60:61], s[36:37], v[114:115]
	v_fma_f64 v[128:129], v[60:61], s[22:23], v[128:129]
	v_add_f64 v[88:89], v[0:1], v[88:89]
	v_add_f64 v[108:109], v[0:1], v[108:109]
	v_fma_f64 v[78:79], v[60:61], s[24:25], v[78:79]
	v_fma_f64 v[80:81], v[60:61], s[40:41], v[80:81]
	v_add_f64 v[62:63], v[0:1], v[62:63]
	v_add_f64 v[64:65], v[0:1], v[64:65]
	v_mul_f64 v[66:67], v[66:67], s[10:11]
	v_fma_f64 v[150:151], v[60:61], s[6:7], v[58:59]
	v_add_f64 v[164:165], v[0:1], v[164:165]
	v_fma_f64 v[58:59], v[60:61], s[42:43], v[58:59]
	v_add_f64 v[0:1], v[0:1], v[52:53]
	v_add_f64 v[76:77], v[24:25], v[12:13]
	v_mul_f64 v[106:107], v[72:73], s[18:19]
	v_fma_f64 v[146:147], v[70:71], s[24:25], v[102:103]
	v_mul_f64 v[134:135], v[72:73], s[10:11]
	v_add_f64 v[54:55], v[32:33], v[54:55]
	v_add_f64 v[82:83], v[144:145], v[82:83]
	v_mul_f64 v[136:137], v[72:73], s[20:21]
	v_fma_f64 v[162:163], v[70:71], s[44:45], v[130:131]
	v_add_f64 v[110:111], v[110:111], v[112:113]
	v_fma_f64 v[112:113], v[60:61], s[44:45], v[140:141]
	v_fma_f64 v[140:141], v[60:61], s[30:31], v[140:141]
	;; [unrolled: 1-line block ×3, first 2 shown]
	v_add_f64 v[148:149], v[160:161], v[148:149]
	v_mul_f64 v[116:117], v[72:73], s[4:5]
	v_add_f64 v[88:89], v[114:115], v[88:89]
	v_add_f64 v[108:109], v[128:129], v[108:109]
	v_fma_f64 v[100:101], v[70:71], s[40:41], v[100:101]
	v_fma_f64 v[102:103], v[70:71], s[34:35], v[102:103]
	v_add_f64 v[62:63], v[78:79], v[62:63]
	v_add_f64 v[64:65], v[80:81], v[64:65]
	v_fma_f64 v[78:79], v[70:71], s[22:23], v[66:67]
	v_add_f64 v[80:81], v[150:151], v[164:165]
	v_mul_f64 v[72:73], v[72:73], s[14:15]
	v_fma_f64 v[66:67], v[70:71], s[38:39], v[66:67]
	v_add_f64 v[0:1], v[58:59], v[0:1]
	v_add_f64 v[86:87], v[14:15], -v[26:27]
	v_add_f64 v[52:53], v[28:29], v[54:55]
	v_add_f64 v[82:83], v[152:153], v[82:83]
	v_fma_f64 v[152:153], v[70:71], s[36:37], v[142:143]
	v_fma_f64 v[142:143], v[70:71], s[26:27], v[142:143]
	v_add_f64 v[90:91], v[28:29], v[32:33]
	v_add_f64 v[54:55], v[112:113], v[56:57]
	;; [unrolled: 1-line block ×3, first 2 shown]
	v_fma_f64 v[112:113], v[70:71], s[30:31], v[130:131]
	v_fma_f64 v[124:125], v[70:71], s[42:43], v[132:133]
	v_mul_f64 v[118:119], v[76:77], s[10:11]
	v_mul_f64 v[120:121], v[76:77], s[4:5]
	v_fma_f64 v[154:155], v[74:75], s[44:45], v[106:107]
	v_add_f64 v[84:85], v[146:147], v[84:85]
	v_mul_f64 v[138:139], v[76:77], s[20:21]
	v_fma_f64 v[146:147], v[74:75], s[22:23], v[134:135]
	v_add_f64 v[110:111], v[162:163], v[110:111]
	v_fma_f64 v[60:61], v[74:75], s[40:41], v[136:137]
	v_add_f64 v[114:115], v[144:145], v[148:149]
	v_mul_f64 v[128:129], v[76:77], s[18:19]
	v_fma_f64 v[58:59], v[74:75], s[42:43], v[116:117]
	v_fma_f64 v[70:71], v[74:75], s[6:7], v[116:117]
	v_mul_f64 v[116:117], v[76:77], s[14:15]
	v_add_f64 v[52:53], v[24:25], v[52:53]
	v_add_f64 v[62:63], v[100:101], v[62:63]
	;; [unrolled: 1-line block ×3, first 2 shown]
	v_fma_f64 v[100:101], v[74:75], s[36:37], v[104:105]
	v_fma_f64 v[102:103], v[74:75], s[30:31], v[106:107]
	v_add_f64 v[54:55], v[152:153], v[54:55]
	v_add_f64 v[56:57], v[142:143], v[56:57]
	;; [unrolled: 1-line block ×4, first 2 shown]
	v_fma_f64 v[112:113], v[74:75], s[38:39], v[134:135]
	v_fma_f64 v[124:125], v[74:75], s[28:29], v[136:137]
	v_add_f64 v[78:79], v[78:79], v[80:81]
	v_fma_f64 v[80:81], v[74:75], s[34:35], v[72:73]
	v_mul_f64 v[76:77], v[76:77], s[16:17]
	v_fma_f64 v[72:73], v[74:75], s[24:25], v[72:73]
	v_add_f64 v[0:1], v[66:67], v[0:1]
	v_add_f64 v[98:99], v[34:35], -v[30:31]
	v_mul_f64 v[122:123], v[90:91], s[18:19]
	v_mul_f64 v[126:127], v[90:91], s[16:17]
	v_fma_f64 v[156:157], v[86:87], s[38:39], v[118:119]
	v_fma_f64 v[158:159], v[86:87], s[6:7], v[120:121]
	v_add_f64 v[84:85], v[154:155], v[84:85]
	v_add_f64 v[52:53], v[20:21], v[52:53]
	;; [unrolled: 1-line block ×4, first 2 shown]
	v_fma_f64 v[104:105], v[86:87], s[40:41], v[138:139]
	v_fma_f64 v[106:107], v[86:87], s[44:45], v[128:129]
	v_mul_f64 v[66:67], v[90:91], s[4:5]
	v_mul_f64 v[74:75], v[90:91], s[14:15]
	v_add_f64 v[54:55], v[58:59], v[54:55]
	v_add_f64 v[56:57], v[70:71], v[56:57]
	v_fma_f64 v[58:59], v[86:87], s[34:35], v[116:117]
	v_fma_f64 v[70:71], v[86:87], s[24:25], v[116:117]
	v_mul_f64 v[114:115], v[90:91], s[10:11]
	v_add_f64 v[88:89], v[112:113], v[88:89]
	v_add_f64 v[108:109], v[124:125], v[108:109]
	v_fma_f64 v[112:113], v[86:87], s[28:29], v[138:139]
	v_fma_f64 v[116:117], v[86:87], s[30:31], v[128:129]
	v_add_f64 v[62:63], v[100:101], v[62:63]
	v_add_f64 v[64:65], v[102:103], v[64:65]
	v_fma_f64 v[100:101], v[86:87], s[22:23], v[118:119]
	v_fma_f64 v[102:103], v[86:87], s[42:43], v[120:121]
	v_add_f64 v[78:79], v[80:81], v[78:79]
	v_fma_f64 v[80:81], v[86:87], s[36:37], v[76:77]
	v_mul_f64 v[90:91], v[90:91], s[20:21]
	v_fma_f64 v[76:77], v[86:87], s[26:27], v[76:77]
	v_add_f64 v[0:1], v[72:73], v[0:1]
	v_add_f64 v[52:53], v[16:17], v[52:53]
	;; [unrolled: 1-line block ×4, first 2 shown]
	v_fma_f64 v[118:119], v[98:99], s[44:45], v[122:123]
	v_fma_f64 v[72:73], v[98:99], s[36:37], v[126:127]
	v_add_f64 v[86:87], v[104:105], v[110:111]
	v_add_f64 v[60:61], v[106:107], v[60:61]
	v_fma_f64 v[104:105], v[98:99], s[42:43], v[66:67]
	v_fma_f64 v[106:107], v[98:99], s[34:35], v[74:75]
	v_add_f64 v[54:55], v[58:59], v[54:55]
	v_add_f64 v[56:57], v[70:71], v[56:57]
	;; [unrolled: 4-line block ×4, first 2 shown]
	v_fma_f64 v[100:101], v[98:99], s[30:31], v[122:123]
	v_fma_f64 v[102:103], v[98:99], s[26:27], v[126:127]
	v_add_f64 v[78:79], v[80:81], v[78:79]
	v_fma_f64 v[80:81], v[98:99], s[28:29], v[90:91]
	v_fma_f64 v[90:91], v[98:99], s[40:41], v[90:91]
	v_add_f64 v[0:1], v[76:77], v[0:1]
	v_add_f64 v[52:53], v[8:9], v[52:53]
	;; [unrolled: 1-line block ×4, first 2 shown]
	v_lshl_add_u32 v98, v95, 3, 0
	v_add_f64 v[82:83], v[104:105], v[86:87]
	v_add_f64 v[60:61], v[106:107], v[60:61]
	v_lshl_add_u32 v99, v97, 3, 0
	v_cmp_gt_u32_e64 s0, 39, v93
	v_add_f64 v[54:55], v[58:59], v[54:55]
	v_add_f64 v[56:57], v[70:71], v[56:57]
	;; [unrolled: 1-line block ×6, first 2 shown]
	v_lshl_add_u32 v100, v96, 3, 0
	v_add_f64 v[74:75], v[80:81], v[78:79]
	v_lshl_add_u32 v102, v94, 3, 0
	v_add_f64 v[70:71], v[90:91], v[0:1]
	v_add_f64 v[52:53], v[4:5], v[52:53]
	v_mad_u32_u24 v0, 0x68, v93, 0
	ds_write2_b64 v0, v[76:77], v[72:73] offset0:2 offset1:3
	ds_write2_b64 v0, v[82:83], v[60:61] offset0:4 offset1:5
	;; [unrolled: 1-line block ×5, first 2 shown]
	ds_write_b64 v0, v[70:71] offset:96
	ds_write2_b64 v0, v[52:53], v[74:75] offset1:1
	v_mad_i32_i24 v1, 0xffffffa0, v93, v0
	s_waitcnt lgkmcnt(0)
	s_barrier
	buffer_gl0_inv
                                        ; implicit-def: $vgpr82_vgpr83
	v_add_nc_u32_e32 v80, 0xc00, v1
	v_add_nc_u32_e32 v81, 0x1c00, v1
	;; [unrolled: 1-line block ×4, first 2 shown]
	ds_read_b64 v[76:77], v98
	ds_read_b64 v[72:73], v99
	;; [unrolled: 1-line block ×4, first 2 shown]
	ds_read2_b64 v[60:63], v80 offset0:123 offset1:240
	ds_read2_b64 v[64:67], v81 offset0:118 offset1:235
	;; [unrolled: 1-line block ×4, first 2 shown]
	v_mul_i32_i24_e32 v1, 0xffffffa0, v93
                                        ; implicit-def: $vgpr80_vgpr81
	v_add_nc_u32_e32 v101, v0, v1
	s_and_saveexec_b32 s1, s0
	s_cbranch_execz .LBB0_15
; %bb.14:
	ds_read_b64 v[82:83], v101 offset:7800
	ds_read_b64 v[70:71], v102
	ds_read_b64 v[80:81], v101 offset:11856
.LBB0_15:
	s_or_b32 exec_lo, exec_lo, s1
	v_add_f64 v[84:85], v[46:47], v[2:3]
	v_add_f64 v[28:29], v[32:33], -v[28:29]
	v_add_f64 v[4:5], v[44:45], -v[4:5]
	;; [unrolled: 1-line block ×3, first 2 shown]
	v_add_f64 v[44:45], v[6:7], v[46:47]
	v_add_f64 v[16:17], v[36:37], -v[16:17]
	v_add_f64 v[36:37], v[10:11], v[50:51]
	v_add_f64 v[46:47], v[18:19], v[38:39]
	v_add_f64 v[20:21], v[40:41], -v[20:21]
	v_add_f64 v[40:41], v[26:27], v[14:15]
	v_add_f64 v[12:13], v[12:13], -v[24:25]
	v_add_f64 v[24:25], v[30:31], v[34:35]
	v_add_f64 v[48:49], v[22:23], v[42:43]
	s_waitcnt lgkmcnt(0)
	s_barrier
	buffer_gl0_inv
	v_add_f64 v[84:85], v[50:51], v[84:85]
	v_mul_f64 v[139:140], v[28:29], s[40:41]
	v_mul_f64 v[50:51], v[4:5], s[42:43]
	;; [unrolled: 1-line block ×21, first 2 shown]
	v_add_f64 v[32:33], v[38:39], v[84:85]
	v_mul_f64 v[38:39], v[4:5], s[44:45]
	v_mul_f64 v[84:85], v[4:5], s[38:39]
	;; [unrolled: 1-line block ×3, first 2 shown]
	v_fma_f64 v[151:152], v[44:45], s[4:5], v[50:51]
	v_fma_f64 v[50:51], v[44:45], s[4:5], -v[50:51]
	v_fma_f64 v[155:156], v[44:45], s[16:17], v[88:89]
	v_fma_f64 v[88:89], v[44:45], s[16:17], -v[88:89]
	;; [unrolled: 2-line block ×7, first 2 shown]
	v_fma_f64 v[169:170], v[46:47], s[20:21], v[113:114]
	v_fma_f64 v[171:172], v[46:47], s[18:19], v[117:118]
	v_fma_f64 v[117:118], v[46:47], s[18:19], -v[117:118]
	v_fma_f64 v[173:174], v[46:47], s[4:5], v[119:120]
	v_add_f64 v[32:33], v[42:43], v[32:33]
	v_fma_f64 v[149:150], v[44:45], s[18:19], v[38:39]
	v_fma_f64 v[153:154], v[44:45], s[10:11], v[84:85]
	v_fma_f64 v[157:158], v[44:45], s[20:21], v[4:5]
	v_fma_f64 v[4:5], v[44:45], s[20:21], -v[4:5]
	v_fma_f64 v[84:85], v[44:45], s[10:11], -v[84:85]
	;; [unrolled: 1-line block ×4, first 2 shown]
	v_fma_f64 v[175:176], v[46:47], s[16:17], v[16:17]
	v_fma_f64 v[16:17], v[46:47], s[16:17], -v[16:17]
	v_add_f64 v[50:51], v[2:3], v[50:51]
	v_add_f64 v[88:89], v[2:3], v[88:89]
	v_mul_f64 v[42:43], v[20:21], s[38:39]
	v_mul_f64 v[20:21], v[20:21], s[6:7]
	;; [unrolled: 1-line block ×6, first 2 shown]
	v_fma_f64 v[179:180], v[48:49], s[20:21], v[127:128]
	v_mul_f64 v[12:13], v[12:13], s[24:25]
	v_mul_f64 v[141:142], v[28:29], s[30:31]
	;; [unrolled: 1-line block ×3, first 2 shown]
	v_add_f64 v[14:15], v[14:15], v[32:33]
	v_fma_f64 v[32:33], v[44:45], s[14:15], v[86:87]
	v_fma_f64 v[86:87], v[44:45], s[14:15], -v[86:87]
	v_fma_f64 v[44:45], v[36:37], s[4:5], v[90:91]
	v_fma_f64 v[90:91], v[36:37], s[4:5], -v[90:91]
	;; [unrolled: 2-line block ×3, first 2 shown]
	v_add_f64 v[4:5], v[2:3], v[4:5]
	v_add_f64 v[84:85], v[2:3], v[84:85]
	v_mul_f64 v[145:146], v[28:29], s[6:7]
	v_add_f64 v[50:51], v[103:104], v[50:51]
	v_mul_f64 v[147:148], v[28:29], s[24:25]
	v_fma_f64 v[177:178], v[48:49], s[10:11], v[42:43]
	v_fma_f64 v[42:43], v[48:49], s[10:11], -v[42:43]
	v_mul_f64 v[28:29], v[28:29], s[22:23]
	v_add_f64 v[14:15], v[34:35], v[14:15]
	v_fma_f64 v[34:35], v[46:47], s[20:21], -v[113:114]
	v_fma_f64 v[113:114], v[46:47], s[14:15], v[115:116]
	v_fma_f64 v[115:116], v[46:47], s[14:15], -v[115:116]
	v_add_f64 v[46:47], v[2:3], v[149:150]
	v_add_f64 v[149:150], v[2:3], v[151:152]
	;; [unrolled: 1-line block ×11, first 2 shown]
	v_fma_f64 v[38:39], v[48:49], s[14:15], -v[121:122]
	v_fma_f64 v[157:158], v[48:49], s[18:19], v[125:126]
	v_fma_f64 v[88:89], v[48:49], s[4:5], v[20:21]
	v_fma_f64 v[20:21], v[48:49], s[4:5], -v[20:21]
	v_fma_f64 v[125:126], v[48:49], s[18:19], -v[125:126]
	v_fma_f64 v[105:106], v[40:41], s[10:11], v[131:132]
	v_fma_f64 v[109:110], v[40:41], s[10:11], -v[131:132]
	v_add_f64 v[14:15], v[30:31], v[14:15]
	v_fma_f64 v[30:31], v[48:49], s[14:15], v[121:122]
	v_fma_f64 v[121:122], v[48:49], s[16:17], v[123:124]
	v_add_f64 v[34:35], v[34:35], v[50:51]
	v_add_f64 v[44:45], v[44:45], v[46:47]
	;; [unrolled: 1-line block ×9, first 2 shown]
	v_fma_f64 v[123:124], v[48:49], s[16:17], -v[123:124]
	v_add_f64 v[3:4], v[16:17], v[3:4]
	v_add_f64 v[8:9], v[119:120], v[8:9]
	;; [unrolled: 1-line block ×3, first 2 shown]
	v_fma_f64 v[84:85], v[40:41], s[20:21], -v[135:136]
	v_fma_f64 v[90:91], v[40:41], s[16:17], -v[129:130]
	;; [unrolled: 1-line block ×3, first 2 shown]
	v_fma_f64 v[119:120], v[24:25], s[10:11], v[28:29]
	v_add_nc_u32_e32 v5, 0xc00, v101
	v_add_f64 v[14:15], v[26:27], v[14:15]
	v_fma_f64 v[26:27], v[48:49], s[20:21], -v[127:128]
	v_fma_f64 v[48:49], v[40:41], s[16:17], v[129:130]
	v_fma_f64 v[127:128], v[40:41], s[4:5], v[133:134]
	v_add_f64 v[36:37], v[36:37], v[44:45]
	v_add_f64 v[44:45], v[169:170], v[46:47]
	;; [unrolled: 1-line block ×8, first 2 shown]
	v_fma_f64 v[107:108], v[40:41], s[18:19], v[137:138]
	v_fma_f64 v[113:114], v[40:41], s[14:15], v[12:13]
	v_fma_f64 v[12:13], v[40:41], s[14:15], -v[12:13]
	v_add_f64 v[34:35], v[123:124], v[34:35]
	v_add_f64 v[3:4], v[20:21], v[3:4]
	v_fma_f64 v[111:112], v[40:41], s[18:19], -v[137:138]
	v_fma_f64 v[129:130], v[40:41], s[4:5], -v[133:134]
	v_add_f64 v[16:17], v[125:126], v[16:17]
	v_fma_f64 v[117:118], v[24:25], s[18:19], v[141:142]
	v_fma_f64 v[20:21], v[24:25], s[16:17], v[143:144]
	v_add_f64 v[14:15], v[22:23], v[14:15]
	v_fma_f64 v[22:23], v[40:41], s[20:21], v[135:136]
	v_add_f64 v[8:9], v[26:27], v[8:9]
	;; [unrolled: 2-line block ×3, first 2 shown]
	v_add_f64 v[36:37], v[121:122], v[44:45]
	v_add_f64 v[44:45], v[157:158], v[46:47]
	;; [unrolled: 1-line block ×7, first 2 shown]
	v_fma_f64 v[26:27], v[24:25], s[16:17], -v[143:144]
	v_fma_f64 v[38:39], v[24:25], s[4:5], v[145:146]
	v_fma_f64 v[86:87], v[24:25], s[4:5], -v[145:146]
	v_fma_f64 v[88:89], v[24:25], s[14:15], v[147:148]
	v_fma_f64 v[103:104], v[24:25], s[14:15], -v[147:148]
	v_add_f64 v[34:35], v[109:110], v[34:35]
	v_add_f64 v[3:4], v[12:13], v[3:4]
	;; [unrolled: 1-line block ×4, first 2 shown]
	v_fma_f64 v[18:19], v[24:25], s[18:19], -v[141:142]
	v_fma_f64 v[24:25], v[24:25], s[10:11], -v[28:29]
	v_add_f64 v[8:9], v[111:112], v[8:9]
	v_add_f64 v[28:29], v[48:49], v[30:31]
	;; [unrolled: 1-line block ×10, first 2 shown]
                                        ; implicit-def: $vgpr26_vgpr27
	v_add_f64 v[10:11], v[10:11], v[14:15]
	v_add_f64 v[18:19], v[18:19], v[34:35]
	;; [unrolled: 1-line block ×12, first 2 shown]
	v_add_nc_u32_e32 v24, 0x2400, v101
	v_add_f64 v[1:2], v[6:7], v[10:11]
	v_add_nc_u32_e32 v6, 0x1c00, v101
	v_add_nc_u32_e32 v7, 0x1400, v101
	ds_write2_b64 v0, v[28:29], v[20:21] offset0:2 offset1:3
	ds_write2_b64 v0, v[22:23], v[32:33] offset0:4 offset1:5
	;; [unrolled: 1-line block ×5, first 2 shown]
	ds_write_b64 v0, v[16:17] offset:96
	ds_write2_b64 v0, v[1:2], v[14:15] offset1:1
	s_waitcnt lgkmcnt(0)
	s_barrier
	buffer_gl0_inv
	ds_read2_b64 v[8:11], v5 offset0:123 offset1:240
	ds_read2_b64 v[12:15], v6 offset0:118 offset1:235
	ds_read_b64 v[20:21], v98
	ds_read_b64 v[18:19], v99
	ds_read2_b64 v[4:7], v7 offset0:101 offset1:218
	ds_read2_b64 v[0:3], v24 offset0:96 offset1:213
	ds_read_b64 v[24:25], v101
	ds_read_b64 v[22:23], v100
                                        ; implicit-def: $vgpr28_vgpr29
	s_and_saveexec_b32 s1, s0
	s_cbranch_execz .LBB0_17
; %bb.16:
	ds_read_b64 v[28:29], v101 offset:7800
	ds_read_b64 v[16:17], v102
	ds_read_b64 v[26:27], v101 offset:11856
.LBB0_17:
	s_or_b32 exec_lo, exec_lo, s1
	v_and_b32_e32 v104, 0xff, v93
	v_mov_b32_e32 v30, 0x4ec5
	v_and_b32_e32 v103, 0xff, v95
	v_mov_b32_e32 v46, 5
	s_mov_b32 s4, 0xe8584caa
	v_mul_lo_u16 v31, 0x4f, v104
	v_mul_u32_u24_sdwa v33, v97, v30 dst_sel:DWORD dst_unused:UNUSED_PAD src0_sel:WORD_0 src1_sel:DWORD
	v_mul_lo_u16 v32, 0x4f, v103
	v_mul_u32_u24_sdwa v34, v96, v30 dst_sel:DWORD dst_unused:UNUSED_PAD src0_sel:WORD_0 src1_sel:DWORD
	v_mul_u32_u24_sdwa v30, v94, v30 dst_sel:DWORD dst_unused:UNUSED_PAD src0_sel:WORD_0 src1_sel:DWORD
	v_lshrrev_b16 v138, 10, v31
	v_lshrrev_b32_e32 v140, 18, v33
	v_lshrrev_b16 v139, 10, v32
	v_lshrrev_b32_e32 v141, 18, v34
	v_lshrrev_b32_e32 v142, 18, v30
	v_mul_lo_u16 v31, v138, 13
	v_mul_lo_u16 v32, v140, 13
	v_mul_lo_u16 v30, v139, 13
	v_mul_lo_u16 v33, v141, 13
	s_mov_b32 s5, 0x3febb67a
	v_sub_nc_u16 v143, v93, v31
	v_mul_lo_u16 v31, v142, 13
	v_sub_nc_u16 v145, v97, v32
	v_sub_nc_u16 v144, v95, v30
	;; [unrolled: 1-line block ×3, first 2 shown]
	v_lshlrev_b32_sdwa v34, v46, v143 dst_sel:DWORD dst_unused:UNUSED_PAD src0_sel:DWORD src1_sel:BYTE_0
	v_sub_nc_u16 v105, v94, v31
	v_lshlrev_b32_sdwa v50, v46, v145 dst_sel:DWORD dst_unused:UNUSED_PAD src0_sel:DWORD src1_sel:WORD_0
	v_lshlrev_b32_sdwa v42, v46, v144 dst_sel:DWORD dst_unused:UNUSED_PAD src0_sel:DWORD src1_sel:BYTE_0
	v_lshlrev_b32_sdwa v51, v46, v146 dst_sel:DWORD dst_unused:UNUSED_PAD src0_sel:DWORD src1_sel:WORD_0
	s_clause 0x3
	global_load_dwordx4 v[30:33], v34, s[8:9] offset:16
	global_load_dwordx4 v[34:37], v34, s[8:9]
	global_load_dwordx4 v[38:41], v42, s[8:9] offset:16
	global_load_dwordx4 v[42:45], v42, s[8:9]
	v_lshlrev_b32_sdwa v84, v46, v105 dst_sel:DWORD dst_unused:UNUSED_PAD src0_sel:DWORD src1_sel:WORD_0
	s_clause 0x5
	global_load_dwordx4 v[46:49], v50, s[8:9]
	global_load_dwordx4 v[88:91], v50, s[8:9] offset:16
	global_load_dwordx4 v[106:109], v51, s[8:9]
	global_load_dwordx4 v[110:113], v51, s[8:9] offset:16
	;; [unrolled: 2-line block ×3, first 2 shown]
	s_mov_b32 s7, 0xbfebb67a
	s_mov_b32 s6, s4
	s_waitcnt vmcnt(0) lgkmcnt(0)
	s_barrier
	buffer_gl0_inv
	v_mul_f64 v[126:127], v[4:5], v[48:49]
	v_mul_f64 v[50:51], v[8:9], v[36:37]
	;; [unrolled: 1-line block ×20, first 2 shown]
	v_fma_f64 v[52:53], v[52:53], v[46:47], -v[126:127]
	v_fma_f64 v[84:85], v[60:61], v[34:35], -v[50:51]
	;; [unrolled: 1-line block ×10, first 2 shown]
	v_fma_f64 v[66:67], v[8:9], v[34:35], v[36:37]
	v_fma_f64 v[30:31], v[12:13], v[30:31], v[32:33]
	;; [unrolled: 1-line block ×10, first 2 shown]
	v_mov_b32_e32 v106, 0x138
	v_add_f64 v[32:33], v[72:73], v[52:53]
	v_add_f64 v[10:11], v[78:79], v[84:85]
	;; [unrolled: 1-line block ×10, first 2 shown]
	v_add_f64 v[12:13], v[66:67], -v[30:31]
	v_add_f64 v[44:45], v[82:83], -v[48:49]
	;; [unrolled: 1-line block ×4, first 2 shown]
	v_add_f64 v[10:11], v[10:11], v[86:87]
	v_fma_f64 v[40:41], v[0:1], -0.5, v[78:79]
	v_fma_f64 v[1:2], v[2:3], -0.5, v[72:73]
	v_add_f64 v[72:73], v[28:29], -v[26:27]
	v_fma_f64 v[8:9], v[8:9], -0.5, v[70:71]
	v_mul_u32_u24_sdwa v71, v138, v106 dst_sel:DWORD dst_unused:UNUSED_PAD src0_sel:WORD_0 src1_sel:DWORD
	v_fma_f64 v[4:5], v[4:5], -0.5, v[76:77]
	v_add_f64 v[77:78], v[36:37], v[58:59]
	v_fma_f64 v[6:7], v[6:7], -0.5, v[74:75]
	v_mul_u32_u24_sdwa v74, v139, v106 dst_sel:DWORD dst_unused:UNUSED_PAD src0_sel:WORD_0 src1_sel:DWORD
	v_add_f64 v[75:76], v[32:33], v[64:65]
	v_add_f64 v[32:33], v[38:39], v[56:57]
	;; [unrolled: 1-line block ×3, first 2 shown]
	v_mov_b32_e32 v0, 3
	v_mul_u32_u24_e32 v79, 0x138, v140
	v_mul_lo_u16 v70, v142, 39
	v_fma_f64 v[106:107], v[12:13], s[4:5], v[40:41]
	v_fma_f64 v[12:13], v[12:13], s[6:7], v[40:41]
	;; [unrolled: 1-line block ×10, first 2 shown]
	v_mul_u32_u24_e32 v7, 0x138, v141
	v_lshlrev_b32_sdwa v8, v0, v143 dst_sel:DWORD dst_unused:UNUSED_PAD src0_sel:DWORD src1_sel:BYTE_0
	v_lshlrev_b32_sdwa v9, v0, v144 dst_sel:DWORD dst_unused:UNUSED_PAD src0_sel:DWORD src1_sel:BYTE_0
	v_lshlrev_b32_sdwa v46, v0, v145 dst_sel:DWORD dst_unused:UNUSED_PAD src0_sel:DWORD src1_sel:WORD_0
	v_lshlrev_b32_sdwa v47, v0, v146 dst_sel:DWORD dst_unused:UNUSED_PAD src0_sel:DWORD src1_sel:WORD_0
	v_add3_u32 v73, 0, v71, v8
	v_add3_u32 v74, 0, v74, v9
	v_add3_u32 v72, 0, v79, v46
	v_add3_u32 v71, 0, v7, v47
	ds_write2_b64 v73, v[10:11], v[106:107] offset1:13
	ds_write_b64 v73, v[12:13] offset:208
	ds_write2_b64 v74, v[14:15], v[40:41] offset1:13
	ds_write_b64 v74, v[3:4] offset:208
	;; [unrolled: 2-line block ×4, first 2 shown]
	s_and_saveexec_b32 s1, s0
	s_cbranch_execz .LBB0_19
; %bb.18:
	v_lshlrev_b32_sdwa v1, v0, v105 dst_sel:DWORD dst_unused:UNUSED_PAD src0_sel:DWORD src1_sel:WORD_0
	v_lshlrev_b32_sdwa v0, v0, v70 dst_sel:DWORD dst_unused:UNUSED_PAD src0_sel:DWORD src1_sel:WORD_0
	v_add3_u32 v0, 0, v1, v0
	ds_write2_b64 v0, v[32:33], v[36:37] offset1:13
	ds_write_b64 v0, v[38:39] offset:208
.LBB0_19:
	s_or_b32 exec_lo, exec_lo, s1
	v_add_nc_u32_e32 v0, 0xc00, v101
	v_add_nc_u32_e32 v4, 0x1c00, v101
	;; [unrolled: 1-line block ×4, first 2 shown]
	s_waitcnt lgkmcnt(0)
	s_barrier
	buffer_gl0_inv
	ds_read2_b64 v[0:3], v0 offset0:123 offset1:240
	ds_read2_b64 v[8:11], v4 offset0:118 offset1:235
	ds_read_b64 v[42:43], v98
	ds_read_b64 v[40:41], v99
	ds_read2_b64 v[4:7], v5 offset0:101 offset1:218
	ds_read2_b64 v[12:15], v12 offset0:96 offset1:213
	ds_read_b64 v[46:47], v101
	ds_read_b64 v[44:45], v100
	s_and_saveexec_b32 s1, s0
	s_cbranch_execz .LBB0_21
; %bb.20:
	ds_read_b64 v[36:37], v101 offset:7800
	ds_read_b64 v[32:33], v102
	ds_read_b64 v[38:39], v101 offset:11856
.LBB0_21:
	s_or_b32 exec_lo, exec_lo, s1
	v_add_f64 v[75:76], v[66:67], v[30:31]
	v_add_f64 v[110:111], v[28:29], v[26:27]
	v_add_f64 v[77:78], v[80:81], v[34:35]
	v_add_f64 v[106:107], v[82:83], v[48:49]
	v_add_f64 v[108:109], v[90:91], v[88:89]
	v_add_f64 v[66:67], v[24:25], v[66:67]
	v_add_f64 v[84:85], v[84:85], -v[86:87]
	v_add_f64 v[79:80], v[20:21], v[80:81]
	v_add_f64 v[28:29], v[16:17], v[28:29]
	v_add_f64 v[50:51], v[50:51], -v[56:57]
	v_add_f64 v[60:61], v[60:61], -v[62:63]
	v_add_f64 v[81:82], v[18:19], v[82:83]
	v_add_f64 v[52:53], v[52:53], -v[64:65]
	v_add_f64 v[86:87], v[22:23], v[90:91]
	v_add_f64 v[54:55], v[54:55], -v[58:59]
	s_mov_b32 s4, 0xe8584caa
	s_mov_b32 s5, 0xbfebb67a
	;; [unrolled: 1-line block ×4, first 2 shown]
	s_waitcnt lgkmcnt(0)
	s_barrier
	buffer_gl0_inv
	v_fma_f64 v[24:25], v[75:76], -0.5, v[24:25]
	v_fma_f64 v[16:17], v[110:111], -0.5, v[16:17]
	;; [unrolled: 1-line block ×5, first 2 shown]
	v_add_f64 v[30:31], v[66:67], v[30:31]
	v_add_f64 v[62:63], v[79:80], v[34:35]
	;; [unrolled: 1-line block ×5, first 2 shown]
	v_fma_f64 v[26:27], v[84:85], s[4:5], v[24:25]
	v_fma_f64 v[58:59], v[50:51], s[4:5], v[16:17]
	;; [unrolled: 1-line block ×10, first 2 shown]
	ds_write2_b64 v73, v[30:31], v[26:27] offset1:13
	ds_write_b64 v73, v[24:25] offset:208
	ds_write2_b64 v74, v[62:63], v[28:29] offset1:13
	ds_write_b64 v74, v[20:21] offset:208
	;; [unrolled: 2-line block ×4, first 2 shown]
	s_and_saveexec_b32 s1, s0
	s_cbranch_execz .LBB0_23
; %bb.22:
	v_mov_b32_e32 v16, 3
	v_lshlrev_b32_sdwa v17, v16, v105 dst_sel:DWORD dst_unused:UNUSED_PAD src0_sel:DWORD src1_sel:WORD_0
	v_lshlrev_b32_sdwa v16, v16, v70 dst_sel:DWORD dst_unused:UNUSED_PAD src0_sel:DWORD src1_sel:WORD_0
	v_add3_u32 v16, 0, v17, v16
	ds_write2_b64 v16, v[34:35], v[58:59] offset1:13
	ds_write_b64 v16, v[56:57] offset:208
.LBB0_23:
	s_or_b32 exec_lo, exec_lo, s1
	v_add_nc_u32_e32 v16, 0xc00, v101
	v_add_nc_u32_e32 v17, 0x1c00, v101
	s_waitcnt lgkmcnt(0)
	s_barrier
	buffer_gl0_inv
	ds_read2_b64 v[28:31], v16 offset0:123 offset1:240
	v_add_nc_u32_e32 v16, 0x1400, v101
	v_add_nc_u32_e32 v18, 0x2400, v101
	ds_read2_b64 v[24:27], v17 offset0:118 offset1:235
	ds_read_b64 v[52:53], v98
	ds_read_b64 v[48:49], v99
	ds_read2_b64 v[20:23], v16 offset0:101 offset1:218
	ds_read2_b64 v[16:19], v18 offset0:96 offset1:213
	ds_read_b64 v[54:55], v101
	ds_read_b64 v[50:51], v100
	s_and_saveexec_b32 s1, s0
	s_cbranch_execz .LBB0_25
; %bb.24:
	ds_read_b64 v[58:59], v101 offset:7800
	ds_read_b64 v[34:35], v102
	ds_read_b64 v[56:57], v101 offset:11856
.LBB0_25:
	s_or_b32 exec_lo, exec_lo, s1
	v_mul_lo_u16 v60, 0xa5, v104
	v_mul_lo_u16 v61, 0xa5, v103
	v_mov_b32_e32 v62, 0xa41b
	s_mov_b32 s4, 0xe8584caa
	s_mov_b32 s5, 0x3febb67a
	v_lshrrev_b16 v60, 8, v60
	v_lshrrev_b16 v61, 8, v61
	v_mul_u32_u24_sdwa v65, v97, v62 dst_sel:DWORD dst_unused:UNUSED_PAD src0_sel:WORD_0 src1_sel:DWORD
	v_mul_u32_u24_sdwa v66, v96, v62 dst_sel:DWORD dst_unused:UNUSED_PAD src0_sel:WORD_0 src1_sel:DWORD
	s_mov_b32 s7, 0xbfebb67a
	v_sub_nc_u16 v63, v93, v60
	v_sub_nc_u16 v64, v95, v61
	v_lshrrev_b32_e32 v65, 16, v65
	v_lshrrev_b32_e32 v66, 16, v66
	s_mov_b32 s6, s4
	v_lshrrev_b16 v63, 1, v63
	v_lshrrev_b16 v64, 1, v64
	v_sub_nc_u16 v67, v97, v65
	v_and_b32_e32 v63, 0x7f, v63
	v_and_b32_e32 v64, 0x7f, v64
	v_add_nc_u16 v60, v63, v60
	v_sub_nc_u16 v63, v96, v66
	v_add_nc_u16 v61, v64, v61
	v_lshrrev_b16 v64, 1, v67
	v_lshrrev_b16 v60, 5, v60
	;; [unrolled: 1-line block ×4, first 2 shown]
	v_add_nc_u16 v64, v64, v65
	v_and_b32_e32 v125, 7, v60
	v_add_nc_u16 v60, v63, v66
	v_and_b32_e32 v126, 7, v61
	v_lshrrev_b16 v127, 5, v64
	v_mov_b32_e32 v63, 5
	v_mul_lo_u16 v61, v125, 39
	v_lshrrev_b16 v128, 5, v60
	v_mul_lo_u16 v60, v126, 39
	v_mul_lo_u16 v64, v127, 39
	v_sub_nc_u16 v129, v93, v61
	v_mul_lo_u16 v61, v128, 39
	v_sub_nc_u16 v130, v95, v60
	v_sub_nc_u16 v131, v97, v64
	v_lshlrev_b32_sdwa v60, v63, v129 dst_sel:DWORD dst_unused:UNUSED_PAD src0_sel:DWORD src1_sel:BYTE_0
	v_sub_nc_u16 v132, v96, v61
	v_lshlrev_b32_sdwa v61, v63, v130 dst_sel:DWORD dst_unused:UNUSED_PAD src0_sel:DWORD src1_sel:BYTE_0
	v_lshlrev_b32_sdwa v64, v63, v131 dst_sel:DWORD dst_unused:UNUSED_PAD src0_sel:DWORD src1_sel:WORD_0
	s_clause 0x1
	global_load_dwordx4 v[70:73], v60, s[8:9] offset:432
	global_load_dwordx4 v[74:77], v60, s[8:9] offset:416
	v_lshlrev_b32_sdwa v60, v63, v132 dst_sel:DWORD dst_unused:UNUSED_PAD src0_sel:DWORD src1_sel:WORD_0
	s_clause 0x5
	global_load_dwordx4 v[78:81], v61, s[8:9] offset:416
	global_load_dwordx4 v[82:85], v61, s[8:9] offset:432
	;; [unrolled: 1-line block ×6, first 2 shown]
	v_mul_u32_u24_sdwa v60, v94, v62 dst_sel:DWORD dst_unused:UNUSED_PAD src0_sel:WORD_0 src1_sel:DWORD
	v_lshrrev_b32_e32 v60, 16, v60
	v_sub_nc_u16 v61, v94, v60
	v_lshrrev_b16 v61, 1, v61
	v_add_nc_u16 v60, v61, v60
	v_lshrrev_b16 v60, 5, v60
	v_mul_lo_u16 v60, v60, 39
	v_sub_nc_u16 v60, v94, v60
	v_and_b32_e32 v133, 0xffff, v60
	v_lshlrev_b32_e32 v60, 5, v133
	s_clause 0x1
	global_load_dwordx4 v[94:97], v60, s[8:9] offset:416
	global_load_dwordx4 v[115:118], v60, s[8:9] offset:432
	s_waitcnt vmcnt(0) lgkmcnt(0)
	s_barrier
	buffer_gl0_inv
	v_mul_f64 v[64:65], v[30:31], v[80:81]
	v_mul_f64 v[66:67], v[26:27], v[84:85]
	;; [unrolled: 1-line block ×16, first 2 shown]
	v_fma_f64 v[62:63], v[8:9], v[70:71], -v[62:63]
	v_fma_f64 v[60:61], v[0:1], v[74:75], -v[60:61]
	;; [unrolled: 1-line block ×8, first 2 shown]
	v_fma_f64 v[0:1], v[16:17], v[103:104], v[105:106]
	v_fma_f64 v[16:17], v[28:29], v[74:75], v[76:77]
	;; [unrolled: 1-line block ×8, first 2 shown]
	v_add_f64 v[28:29], v[60:61], v[62:63]
	v_add_f64 v[80:81], v[46:47], v[60:61]
	;; [unrolled: 1-line block ×8, first 2 shown]
	v_mul_f64 v[70:71], v[58:59], v[96:97]
	v_mul_f64 v[72:73], v[36:37], v[96:97]
	;; [unrolled: 1-line block ×3, first 2 shown]
	v_add_f64 v[82:83], v[16:17], -v[2:3]
	v_add_f64 v[86:87], v[24:25], -v[20:21]
	;; [unrolled: 1-line block ×4, first 2 shown]
	v_mov_b32_e32 v96, 0x3a8
	v_mov_b32_e32 v97, 3
	v_mul_u32_u24_sdwa v103, v127, v96 dst_sel:DWORD dst_unused:UNUSED_PAD src0_sel:WORD_0 src1_sel:DWORD
	v_mul_u32_u24_sdwa v104, v128, v96 dst_sel:DWORD dst_unused:UNUSED_PAD src0_sel:WORD_0 src1_sel:DWORD
	v_fma_f64 v[46:47], v[28:29], -0.5, v[46:47]
	v_mul_u32_u24_sdwa v105, v125, v96 dst_sel:DWORD dst_unused:UNUSED_PAD src0_sel:WORD_0 src1_sel:DWORD
	v_fma_f64 v[42:43], v[26:27], -0.5, v[42:43]
	v_fma_f64 v[44:45], v[66:67], -0.5, v[44:45]
	v_mul_f64 v[66:67], v[38:39], v[117:118]
	v_fma_f64 v[40:41], v[22:23], -0.5, v[40:41]
	v_fma_f64 v[26:27], v[36:37], v[94:95], -v[70:71]
	v_fma_f64 v[22:23], v[58:59], v[94:95], v[72:73]
	v_fma_f64 v[28:29], v[38:39], v[115:116], -v[74:75]
	v_add_f64 v[70:71], v[80:81], v[62:63]
	v_add_f64 v[38:39], v[76:77], v[12:13]
	;; [unrolled: 1-line block ×4, first 2 shown]
	v_fma_f64 v[74:75], v[82:83], s[4:5], v[46:47]
	v_fma_f64 v[76:77], v[82:83], s[6:7], v[46:47]
	v_fma_f64 v[78:79], v[86:87], s[4:5], v[42:43]
	v_fma_f64 v[42:43], v[86:87], s[6:7], v[42:43]
	v_lshlrev_b32_sdwa v47, v97, v129 dst_sel:DWORD dst_unused:UNUSED_PAD src0_sel:DWORD src1_sel:BYTE_0
	v_fma_f64 v[84:85], v[90:91], s[4:5], v[44:45]
	v_fma_f64 v[36:37], v[56:57], v[115:116], v[66:67]
	;; [unrolled: 1-line block ×5, first 2 shown]
	v_lshlrev_b32_sdwa v40, v97, v131 dst_sel:DWORD dst_unused:UNUSED_PAD src0_sel:DWORD src1_sel:WORD_0
	v_lshlrev_b32_sdwa v41, v97, v132 dst_sel:DWORD dst_unused:UNUSED_PAD src0_sel:DWORD src1_sel:WORD_0
	v_mul_u32_u24_sdwa v56, v126, v96 dst_sel:DWORD dst_unused:UNUSED_PAD src0_sel:WORD_0 src1_sel:DWORD
	v_lshlrev_b32_sdwa v57, v97, v130 dst_sel:DWORD dst_unused:UNUSED_PAD src0_sel:DWORD src1_sel:BYTE_0
	v_add3_u32 v47, 0, v105, v47
	v_add3_u32 v46, 0, v103, v40
	;; [unrolled: 1-line block ×3, first 2 shown]
	v_lshl_add_u32 v40, v133, 3, 0
	v_add3_u32 v56, 0, v56, v57
	ds_write2_b64 v47, v[70:71], v[74:75] offset1:39
	ds_write_b64 v47, v[76:77] offset:624
	ds_write2_b64 v56, v[72:73], v[78:79] offset1:39
	ds_write_b64 v56, v[42:43] offset:624
	;; [unrolled: 2-line block ×4, first 2 shown]
	s_and_saveexec_b32 s1, s0
	s_cbranch_execz .LBB0_27
; %bb.26:
	v_add_f64 v[38:39], v[26:27], v[28:29]
	v_add_f64 v[42:43], v[22:23], -v[36:37]
	v_add_f64 v[44:45], v[32:33], v[26:27]
	v_fma_f64 v[32:33], v[38:39], -0.5, v[32:33]
	v_add_f64 v[38:39], v[44:45], v[28:29]
	v_fma_f64 v[44:45], v[42:43], s[4:5], v[32:33]
	v_fma_f64 v[32:33], v[42:43], s[6:7], v[32:33]
	v_add_nc_u32_e32 v42, 0x2800, v40
	ds_write2_b64 v42, v[38:39], v[44:45] offset0:124 offset1:163
	ds_write_b64 v40, v[32:33] offset:11856
.LBB0_27:
	s_or_b32 exec_lo, exec_lo, s1
	v_add_f64 v[32:33], v[16:17], v[2:3]
	v_add_f64 v[38:39], v[24:25], v[20:21]
	;; [unrolled: 1-line block ×5, first 2 shown]
	v_add_f64 v[59:60], v[60:61], -v[62:63]
	v_add_f64 v[30:31], v[50:51], v[30:31]
	v_add_f64 v[24:25], v[52:53], v[24:25]
	v_add_f64 v[8:9], v[8:9], -v[64:65]
	v_add_f64 v[61:62], v[48:49], v[14:15]
	v_add_f64 v[10:11], v[10:11], -v[12:13]
	v_add_f64 v[4:5], v[4:5], -v[6:7]
	v_add_nc_u32_e32 v12, 0x1000, v101
	v_add_nc_u32_e32 v65, 0x1800, v101
	;; [unrolled: 1-line block ×4, first 2 shown]
	s_waitcnt lgkmcnt(0)
	s_barrier
	buffer_gl0_inv
	v_fma_f64 v[32:33], v[32:33], -0.5, v[54:55]
	v_fma_f64 v[6:7], v[38:39], -0.5, v[52:53]
	;; [unrolled: 1-line block ×4, first 2 shown]
	ds_read_b64 v[50:51], v98
	ds_read_b64 v[44:45], v99
	;; [unrolled: 1-line block ×4, first 2 shown]
	v_add_f64 v[54:55], v[57:58], v[2:3]
	v_add_f64 v[18:19], v[30:31], v[18:19]
	ds_read_b64 v[38:39], v102
	ds_read2_b64 v[12:15], v12 offset0:73 offset1:190
	v_add_f64 v[20:21], v[24:25], v[20:21]
	v_add_f64 v[24:25], v[61:62], v[0:1]
	v_fma_f64 v[30:31], v[59:60], s[6:7], v[32:33]
	v_fma_f64 v[32:33], v[59:60], s[4:5], v[32:33]
	;; [unrolled: 1-line block ×8, first 2 shown]
	ds_read2_b64 v[8:11], v65 offset0:51 offset1:168
	ds_read2_b64 v[4:7], v66 offset0:29 offset1:146
	ds_read2_b64 v[0:3], v67 offset0:7 offset1:124
	s_waitcnt lgkmcnt(0)
	s_barrier
	buffer_gl0_inv
	ds_write2_b64 v47, v[54:55], v[30:31] offset1:39
	ds_write_b64 v47, v[32:33] offset:624
	ds_write2_b64 v56, v[20:21], v[57:58] offset1:39
	ds_write_b64 v56, v[59:60] offset:624
	;; [unrolled: 2-line block ×4, first 2 shown]
	s_and_saveexec_b32 s1, s0
	s_cbranch_execz .LBB0_29
; %bb.28:
	v_add_f64 v[18:19], v[22:23], v[36:37]
	v_add_f64 v[20:21], v[26:27], -v[28:29]
	v_add_f64 v[22:23], v[34:35], v[22:23]
	s_mov_b32 s5, 0xbfebb67a
	s_mov_b32 s4, 0xe8584caa
	v_fma_f64 v[18:19], v[18:19], -0.5, v[34:35]
	v_add_f64 v[22:23], v[22:23], v[36:37]
	v_fma_f64 v[24:25], v[20:21], s[4:5], v[18:19]
	s_mov_b32 s5, 0x3febb67a
	v_fma_f64 v[18:19], v[20:21], s[4:5], v[18:19]
	v_add_nc_u32_e32 v20, 0x2800, v40
	ds_write2_b64 v20, v[22:23], v[24:25] offset0:124 offset1:163
	ds_write_b64 v40, v[18:19] offset:11856
.LBB0_29:
	s_or_b32 exec_lo, exec_lo, s1
	s_waitcnt lgkmcnt(0)
	s_barrier
	buffer_gl0_inv
	s_and_saveexec_b32 s0, vcc_lo
	s_cbranch_execz .LBB0_31
; %bb.30:
	v_mul_u32_u24_e32 v18, 12, v93
	v_add_nc_u32_e32 v28, 0x1000, v101
	v_add_co_u32 v86, vcc_lo, s12, v68
	v_add_co_ci_u32_e32 v87, vcc_lo, s13, v69, vcc_lo
	v_lshlrev_b32_e32 v56, 4, v18
	s_mov_b32 s0, 0xe00740e9
	s_mov_b32 s1, 0x3fec55a7
	;; [unrolled: 1-line block ×3, first 2 shown]
	s_clause 0x1
	global_load_dwordx4 v[20:23], v56, s[8:9] offset:1744
	global_load_dwordx4 v[24:27], v56, s[8:9] offset:1728
	ds_read2_b64 v[28:31], v28 offset0:73 offset1:190
	s_mov_b32 s4, 0x4267c47c
	s_mov_b32 s7, 0x3fe22d96
	;; [unrolled: 1-line block ×25, first 2 shown]
	v_add_nc_u32_e32 v66, 0x75, v92
	s_mov_b32 s31, 0x3fefc445
	s_mov_b32 s30, s10
	;; [unrolled: 1-line block ×4, first 2 shown]
	v_add_nc_u32_e32 v109, 0xea, v92
	v_add_nc_u32_e32 v133, 0x15f, v92
	s_mov_b32 s39, 0x3fea55e2
	s_mov_b32 s38, s28
	v_add_nc_u32_e32 v157, 0x1d4, v92
	v_add_nc_u32_e32 v181, 0x249, v92
	s_waitcnt vmcnt(1)
	v_mul_f64 v[18:19], v[14:15], v[22:23]
	s_waitcnt lgkmcnt(0)
	v_mul_f64 v[22:23], v[30:31], v[22:23]
	v_fma_f64 v[18:19], v[30:31], v[20:21], v[18:19]
	v_fma_f64 v[14:15], v[14:15], v[20:21], -v[22:23]
	s_waitcnt vmcnt(0)
	v_mul_f64 v[20:21], v[12:13], v[26:27]
	v_mul_f64 v[22:23], v[28:29], v[26:27]
	global_load_dwordx4 v[30:33], v56, s[8:9] offset:1776
	v_fma_f64 v[20:21], v[28:29], v[24:25], v[20:21]
	global_load_dwordx4 v[26:29], v56, s[8:9] offset:1760
	v_fma_f64 v[22:23], v[12:13], v[24:25], -v[22:23]
	v_add_nc_u32_e32 v24, 0x1800, v101
	ds_read2_b64 v[34:37], v24 offset0:51 offset1:168
	s_waitcnt vmcnt(0)
	v_mul_f64 v[12:13], v[8:9], v[28:29]
	s_waitcnt lgkmcnt(0)
	v_fma_f64 v[24:25], v[34:35], v[26:27], v[12:13]
	v_mul_f64 v[12:13], v[34:35], v[28:29]
	v_add_nc_u32_e32 v28, 0x2000, v101
	v_add_f64 v[88:89], v[18:19], v[24:25]
	v_fma_f64 v[26:27], v[8:9], v[26:27], -v[12:13]
	v_mul_f64 v[8:9], v[10:11], v[32:33]
	v_mul_f64 v[12:13], v[36:37], v[32:33]
	v_add_f64 v[90:91], v[18:19], -v[24:25]
	v_mul_f64 v[129:130], v[88:89], s[12:13]
	v_mul_f64 v[153:154], v[88:89], s[6:7]
	v_fma_f64 v[8:9], v[36:37], v[30:31], v[8:9]
	v_fma_f64 v[10:11], v[10:11], v[30:31], -v[12:13]
	s_clause 0x1
	global_load_dwordx4 v[30:33], v56, s[8:9] offset:1792
	global_load_dwordx4 v[34:37], v56, s[8:9] offset:1808
	ds_read2_b64 v[46:49], v28 offset0:29 offset1:146
	v_mul_f64 v[131:132], v[90:91], s[24:25]
	v_mul_f64 v[155:156], v[90:91], s[38:39]
	;; [unrolled: 1-line block ×4, first 2 shown]
	s_waitcnt vmcnt(1)
	v_mul_f64 v[12:13], v[4:5], v[32:33]
	s_waitcnt lgkmcnt(0)
	v_fma_f64 v[28:29], v[46:47], v[30:31], v[12:13]
	v_mul_f64 v[12:13], v[46:47], v[32:33]
	v_add_nc_u32_e32 v32, 0x2800, v101
	v_fma_f64 v[4:5], v[4:5], v[30:31], -v[12:13]
	s_waitcnt vmcnt(0)
	v_mul_f64 v[12:13], v[6:7], v[36:37]
	v_fma_f64 v[30:31], v[48:49], v[34:35], v[12:13]
	v_mul_f64 v[12:13], v[48:49], v[36:37]
	v_fma_f64 v[6:7], v[6:7], v[34:35], -v[12:13]
	s_clause 0x1
	global_load_dwordx4 v[34:37], v56, s[8:9] offset:1824
	global_load_dwordx4 v[46:49], v56, s[8:9] offset:1840
	ds_read2_b64 v[52:55], v32 offset0:7 offset1:124
	s_waitcnt vmcnt(1)
	v_mul_f64 v[12:13], v[0:1], v[36:37]
	s_waitcnt lgkmcnt(0)
	v_fma_f64 v[32:33], v[52:53], v[34:35], v[12:13]
	v_mul_f64 v[12:13], v[52:53], v[36:37]
	v_fma_f64 v[0:1], v[0:1], v[34:35], -v[12:13]
	s_waitcnt vmcnt(0)
	v_mul_f64 v[12:13], v[2:3], v[48:49]
	v_fma_f64 v[34:35], v[54:55], v[46:47], v[12:13]
	v_mul_f64 v[12:13], v[54:55], v[48:49]
	v_fma_f64 v[2:3], v[2:3], v[46:47], -v[12:13]
	ds_read_b64 v[40:41], v102
	ds_read_b64 v[12:13], v101
	s_clause 0x1
	global_load_dwordx4 v[46:49], v56, s[8:9] offset:1712
	global_load_dwordx4 v[52:55], v56, s[8:9] offset:1696
	s_waitcnt vmcnt(1)
	v_mul_f64 v[36:37], v[38:39], v[48:49]
	s_waitcnt lgkmcnt(1)
	v_fma_f64 v[36:37], v[40:41], v[46:47], v[36:37]
	v_mul_f64 v[40:41], v[40:41], v[48:49]
	v_add_f64 v[93:94], v[36:37], -v[28:29]
	v_fma_f64 v[40:41], v[38:39], v[46:47], -v[40:41]
	s_waitcnt vmcnt(0)
	v_mul_f64 v[38:39], v[42:43], v[54:55]
	ds_read_b64 v[46:47], v100
	ds_read_b64 v[48:49], v99
	;; [unrolled: 1-line block ×3, first 2 shown]
	v_mul_f64 v[70:71], v[93:94], s[14:15]
	s_waitcnt lgkmcnt(2)
	v_fma_f64 v[38:39], v[46:47], v[52:53], v[38:39]
	v_mul_f64 v[46:47], v[46:47], v[54:55]
	v_add_f64 v[95:96], v[38:39], -v[30:31]
	v_fma_f64 v[46:47], v[42:43], v[52:53], -v[46:47]
	s_clause 0x1
	global_load_dwordx4 v[52:55], v56, s[8:9] offset:1680
	global_load_dwordx4 v[56:59], v56, s[8:9] offset:1664
	s_mov_b32 s8, 0xebaa3ed8
	s_mov_b32 s9, 0x3fbedb7d
	v_mul_f64 v[76:77], v[95:96], s[34:35]
	s_waitcnt vmcnt(1)
	v_mul_f64 v[42:43], v[44:45], v[54:55]
	s_waitcnt lgkmcnt(1)
	v_fma_f64 v[42:43], v[48:49], v[52:53], v[42:43]
	v_mul_f64 v[48:49], v[48:49], v[54:55]
	v_add_f64 v[97:98], v[42:43], v[32:33]
	v_fma_f64 v[48:49], v[44:45], v[52:53], -v[48:49]
	s_waitcnt vmcnt(0)
	v_mul_f64 v[44:45], v[50:51], v[58:59]
	s_waitcnt lgkmcnt(0)
	v_mul_f64 v[52:53], v[60:61], v[58:59]
	v_add_f64 v[99:100], v[42:43], -v[32:33]
	v_mul_f64 v[78:79], v[97:98], s[18:19]
	v_fma_f64 v[44:45], v[60:61], v[56:57], v[44:45]
	v_fma_f64 v[50:51], v[50:51], v[56:57], -v[52:53]
	v_mul_f64 v[82:83], v[99:100], s[26:27]
	v_mul_f64 v[113:114], v[99:100], s[34:35]
	;; [unrolled: 1-line block ×4, first 2 shown]
	v_add_f64 v[52:53], v[12:13], v[44:45]
	v_add_f64 v[54:55], v[16:17], v[50:51]
	;; [unrolled: 1-line block ×3, first 2 shown]
	v_add_f64 v[103:104], v[44:45], -v[34:35]
	v_mul_f64 v[44:45], v[95:96], s[10:11]
	v_add_f64 v[52:53], v[42:43], v[52:53]
	v_add_f64 v[54:55], v[48:49], v[54:55]
	v_mul_f64 v[60:61], v[101:102], s[0:1]
	v_mul_f64 v[62:63], v[103:104], s[4:5]
	;; [unrolled: 1-line block ×8, first 2 shown]
	v_add_f64 v[52:53], v[38:39], v[52:53]
	v_add_f64 v[54:55], v[46:47], v[54:55]
	;; [unrolled: 1-line block ×11, first 2 shown]
	v_add_f64 v[24:25], v[22:23], -v[10:11]
	v_add_f64 v[22:23], v[40:41], -v[4:5]
	v_add_f64 v[52:53], v[8:9], v[52:53]
	v_add_f64 v[54:55], v[10:11], v[54:55]
	v_add_f64 v[10:11], v[20:21], v[8:9]
	v_add_f64 v[8:9], v[20:21], -v[8:9]
	v_add_f64 v[20:21], v[40:41], v[4:5]
	v_mul_f64 v[40:41], v[93:94], s[26:27]
	v_add_f64 v[52:53], v[28:29], v[52:53]
	v_add_f64 v[54:55], v[4:5], v[54:55]
	;; [unrolled: 1-line block ×3, first 2 shown]
	v_add_f64 v[28:29], v[46:47], -v[6:7]
	v_add_f64 v[36:37], v[48:49], -v[0:1]
	v_mul_f64 v[42:43], v[10:11], s[12:13]
	v_mul_f64 v[72:73], v[10:11], s[8:9]
	;; [unrolled: 1-line block ×3, first 2 shown]
	v_add_f64 v[52:53], v[30:31], v[52:53]
	v_add_f64 v[54:55], v[6:7], v[54:55]
	v_mul_f64 v[74:75], v[4:5], s[12:13]
	v_add_f64 v[52:53], v[32:33], v[52:53]
	v_add_f64 v[56:57], v[0:1], v[54:55]
	;; [unrolled: 1-line block ×4, first 2 shown]
	v_mad_u64_u32 v[56:57], null, s2, v92, 0
	v_mad_u64_u32 v[57:58], null, s3, v92, v[57:58]
	v_lshlrev_b64 v[56:57], 4, v[56:57]
	v_add_co_u32 v56, vcc_lo, v86, v56
	v_add_co_ci_u32_e32 v57, vcc_lo, v87, v57, vcc_lo
	global_store_dwordx4 v[56:57], v[52:55], off
	v_add_f64 v[52:53], v[14:15], -v[26:27]
	v_add_f64 v[14:15], v[14:15], v[26:27]
	v_add_f64 v[26:27], v[46:47], v[6:7]
	;; [unrolled: 1-line block ×4, first 2 shown]
	v_add_f64 v[48:49], v[50:51], -v[2:3]
	v_mul_f64 v[54:55], v[97:98], s[6:7]
	v_add_f64 v[46:47], v[50:51], v[2:3]
	v_mul_f64 v[56:57], v[99:100], s[28:29]
	v_mul_f64 v[50:51], v[4:5], s[18:19]
	;; [unrolled: 1-line block ×6, first 2 shown]
	v_fma_f64 v[0:1], v[48:49], s[4:5], v[60:61]
	v_fma_f64 v[2:3], v[36:37], s[28:29], v[54:55]
	v_fma_f64 v[115:116], v[30:31], s[16:17], -v[113:114]
	v_fma_f64 v[32:33], v[30:31], s[6:7], -v[56:57]
	;; [unrolled: 1-line block ×4, first 2 shown]
	v_add_f64 v[0:1], v[12:13], v[0:1]
	v_add_f64 v[0:1], v[2:3], v[0:1]
	v_fma_f64 v[2:3], v[46:47], s[0:1], -v[62:63]
	v_add_f64 v[2:3], v[16:17], v[2:3]
	v_add_f64 v[2:3], v[32:33], v[2:3]
	v_fma_f64 v[32:33], v[28:29], s[10:11], v[58:59]
	v_add_f64 v[0:1], v[32:33], v[0:1]
	v_fma_f64 v[32:33], v[26:27], s[8:9], -v[44:45]
	v_add_f64 v[2:3], v[32:33], v[2:3]
	v_fma_f64 v[32:33], v[22:23], s[26:27], v[50:51]
	v_add_f64 v[0:1], v[32:33], v[0:1]
	v_fma_f64 v[32:33], v[20:21], s[18:19], -v[40:41]
	v_add_f64 v[2:3], v[32:33], v[2:3]
	v_fma_f64 v[32:33], v[24:25], s[24:25], v[42:43]
	v_add_f64 v[0:1], v[32:33], v[0:1]
	v_mul_f64 v[32:33], v[8:9], s[24:25]
	v_fma_f64 v[34:35], v[18:19], s[12:13], -v[32:33]
	v_add_f64 v[64:65], v[34:35], v[2:3]
	v_mul_f64 v[34:35], v[88:89], s[16:17]
	v_fma_f64 v[2:3], v[52:53], s[34:35], v[34:35]
	v_fma_f64 v[34:35], v[52:53], s[20:21], v[34:35]
	v_add_f64 v[2:3], v[2:3], v[0:1]
	v_fma_f64 v[0:1], v[14:15], s[16:17], -v[38:39]
	v_fma_f64 v[38:39], v[14:15], s[16:17], v[38:39]
	v_add_f64 v[0:1], v[0:1], v[64:65]
	v_mad_u64_u32 v[64:65], null, s2, v66, 0
	v_mad_u64_u32 v[65:66], null, s3, v66, v[65:66]
	v_mul_f64 v[66:67], v[90:91], s[36:37]
	v_mul_f64 v[90:91], v[90:91], s[30:31]
	v_lshlrev_b64 v[64:65], 4, v[64:65]
	v_add_co_u32 v64, vcc_lo, v86, v64
	v_add_co_ci_u32_e32 v65, vcc_lo, v87, v65, vcc_lo
	global_store_dwordx4 v[64:65], v[0:3], off
	v_fma_f64 v[0:1], v[48:49], s[28:29], v[105:106]
	v_fma_f64 v[2:3], v[36:37], s[26:27], v[78:79]
	v_fma_f64 v[64:65], v[30:31], s[18:19], -v[82:83]
	v_fma_f64 v[78:79], v[36:37], s[22:23], v[78:79]
	v_fma_f64 v[82:83], v[30:31], s[18:19], v[82:83]
	v_add_f64 v[0:1], v[12:13], v[0:1]
	v_add_f64 v[0:1], v[2:3], v[0:1]
	v_fma_f64 v[2:3], v[46:47], s[6:7], -v[84:85]
	v_fma_f64 v[84:85], v[46:47], s[6:7], v[84:85]
	v_add_f64 v[2:3], v[16:17], v[2:3]
	v_add_f64 v[2:3], v[64:65], v[2:3]
	v_fma_f64 v[64:65], v[28:29], s[34:35], v[80:81]
	v_fma_f64 v[80:81], v[28:29], s[20:21], v[80:81]
	v_add_f64 v[0:1], v[64:65], v[0:1]
	v_fma_f64 v[64:65], v[26:27], s[16:17], -v[76:77]
	v_add_f64 v[2:3], v[64:65], v[2:3]
	v_fma_f64 v[64:65], v[22:23], s[14:15], v[74:75]
	v_add_f64 v[0:1], v[64:65], v[0:1]
	v_fma_f64 v[64:65], v[20:21], s[12:13], -v[70:71]
	v_add_f64 v[2:3], v[64:65], v[2:3]
	;; [unrolled: 4-line block ×3, first 2 shown]
	v_mul_f64 v[64:65], v[88:89], s[0:1]
	v_mul_f64 v[88:89], v[88:89], s[8:9]
	v_fma_f64 v[2:3], v[52:53], s[36:37], v[64:65]
	v_add_f64 v[2:3], v[2:3], v[0:1]
	v_fma_f64 v[0:1], v[14:15], s[0:1], -v[66:67]
	v_add_f64 v[0:1], v[0:1], v[107:108]
	v_mad_u64_u32 v[107:108], null, s2, v109, 0
	v_mad_u64_u32 v[108:109], null, s3, v109, v[108:109]
	v_mul_f64 v[109:110], v[97:98], s[16:17]
	v_lshlrev_b64 v[107:108], 4, v[107:108]
	v_add_co_u32 v107, vcc_lo, v86, v107
	v_add_co_ci_u32_e32 v108, vcc_lo, v87, v108, vcc_lo
	global_store_dwordx4 v[107:108], v[0:3], off
	v_mul_f64 v[107:108], v[101:102], s[8:9]
	v_fma_f64 v[2:3], v[36:37], s[34:35], v[109:110]
	v_fma_f64 v[0:1], v[48:49], s[10:11], v[107:108]
	v_add_f64 v[0:1], v[12:13], v[0:1]
	v_add_f64 v[0:1], v[2:3], v[0:1]
	v_fma_f64 v[2:3], v[46:47], s[8:9], -v[111:112]
	v_add_f64 v[2:3], v[16:17], v[2:3]
	v_add_f64 v[2:3], v[115:116], v[2:3]
	v_mul_f64 v[115:116], v[6:7], s[18:19]
	v_fma_f64 v[117:118], v[28:29], s[22:23], v[115:116]
	v_add_f64 v[0:1], v[117:118], v[0:1]
	v_mul_f64 v[117:118], v[95:96], s[22:23]
	v_fma_f64 v[119:120], v[26:27], s[18:19], -v[117:118]
	v_add_f64 v[2:3], v[119:120], v[2:3]
	v_mul_f64 v[119:120], v[4:5], s[0:1]
	v_fma_f64 v[121:122], v[22:23], s[36:37], v[119:120]
	v_add_f64 v[0:1], v[121:122], v[0:1]
	v_mul_f64 v[121:122], v[93:94], s[36:37]
	v_fma_f64 v[123:124], v[20:21], s[0:1], -v[121:122]
	;; [unrolled: 6-line block ×3, first 2 shown]
	v_add_f64 v[127:128], v[127:128], v[2:3]
	v_fma_f64 v[2:3], v[52:53], s[24:25], v[129:130]
	v_add_f64 v[2:3], v[2:3], v[0:1]
	v_fma_f64 v[0:1], v[14:15], s[12:13], -v[131:132]
	v_add_f64 v[0:1], v[0:1], v[127:128]
	v_mad_u64_u32 v[127:128], null, s2, v133, 0
	v_mad_u64_u32 v[133:134], null, s3, v133, v[128:129]
	v_mov_b32_e32 v128, v133
	v_mul_f64 v[133:134], v[97:98], s[12:13]
	v_lshlrev_b64 v[127:128], 4, v[127:128]
	v_add_co_u32 v127, vcc_lo, v86, v127
	v_add_co_ci_u32_e32 v128, vcc_lo, v87, v128, vcc_lo
	global_store_dwordx4 v[127:128], v[0:3], off
	v_mul_f64 v[127:128], v[101:102], s[18:19]
	v_fma_f64 v[2:3], v[36:37], s[14:15], v[133:134]
	v_fma_f64 v[0:1], v[48:49], s[26:27], v[127:128]
	v_add_f64 v[0:1], v[12:13], v[0:1]
	v_add_f64 v[0:1], v[2:3], v[0:1]
	v_fma_f64 v[2:3], v[46:47], s[18:19], -v[135:136]
	v_add_f64 v[2:3], v[16:17], v[2:3]
	v_add_f64 v[2:3], v[139:140], v[2:3]
	v_mul_f64 v[139:140], v[6:7], s[0:1]
	v_fma_f64 v[141:142], v[28:29], s[36:37], v[139:140]
	v_add_f64 v[0:1], v[141:142], v[0:1]
	v_mul_f64 v[141:142], v[95:96], s[36:37]
	v_fma_f64 v[143:144], v[26:27], s[0:1], -v[141:142]
	v_add_f64 v[2:3], v[143:144], v[2:3]
	v_mul_f64 v[143:144], v[4:5], s[8:9]
	v_fma_f64 v[145:146], v[22:23], s[10:11], v[143:144]
	v_add_f64 v[0:1], v[145:146], v[0:1]
	v_mul_f64 v[145:146], v[93:94], s[10:11]
	v_fma_f64 v[147:148], v[20:21], s[8:9], -v[145:146]
	;; [unrolled: 6-line block ×3, first 2 shown]
	v_add_f64 v[151:152], v[151:152], v[2:3]
	v_fma_f64 v[2:3], v[52:53], s[38:39], v[153:154]
	v_add_f64 v[2:3], v[2:3], v[0:1]
	v_fma_f64 v[0:1], v[14:15], s[6:7], -v[155:156]
	v_add_f64 v[0:1], v[0:1], v[151:152]
	v_mad_u64_u32 v[151:152], null, s2, v157, 0
	v_mad_u64_u32 v[157:158], null, s3, v157, v[152:153]
	v_mov_b32_e32 v152, v157
	v_mul_f64 v[157:158], v[97:98], s[8:9]
	v_mul_f64 v[97:98], v[97:98], s[0:1]
	v_lshlrev_b64 v[151:152], 4, v[151:152]
	v_add_co_u32 v151, vcc_lo, v86, v151
	v_add_co_ci_u32_e32 v152, vcc_lo, v87, v152, vcc_lo
	global_store_dwordx4 v[151:152], v[0:3], off
	v_mul_f64 v[151:152], v[101:102], s[12:13]
	v_mul_f64 v[101:102], v[101:102], s[16:17]
	v_fma_f64 v[2:3], v[36:37], s[30:31], v[157:158]
	v_fma_f64 v[0:1], v[48:49], s[24:25], v[151:152]
	v_add_f64 v[0:1], v[12:13], v[0:1]
	v_add_f64 v[0:1], v[2:3], v[0:1]
	v_fma_f64 v[2:3], v[46:47], s[12:13], -v[159:160]
	v_add_f64 v[2:3], v[16:17], v[2:3]
	v_add_f64 v[2:3], v[163:164], v[2:3]
	v_mul_f64 v[163:164], v[6:7], s[6:7]
	v_mul_f64 v[6:7], v[6:7], s[12:13]
	v_fma_f64 v[165:166], v[28:29], s[28:29], v[163:164]
	v_add_f64 v[0:1], v[165:166], v[0:1]
	v_mul_f64 v[165:166], v[95:96], s[28:29]
	v_mul_f64 v[95:96], v[95:96], s[24:25]
	v_fma_f64 v[167:168], v[26:27], s[6:7], -v[165:166]
	v_add_f64 v[2:3], v[167:168], v[2:3]
	v_mul_f64 v[167:168], v[4:5], s[16:17]
	v_mul_f64 v[4:5], v[4:5], s[6:7]
	v_fma_f64 v[169:170], v[22:23], s[20:21], v[167:168]
	v_add_f64 v[0:1], v[169:170], v[0:1]
	v_mul_f64 v[169:170], v[93:94], s[20:21]
	v_mul_f64 v[93:94], v[93:94], s[38:39]
	v_fma_f64 v[171:172], v[20:21], s[16:17], -v[169:170]
	;; [unrolled: 8-line block ×3, first 2 shown]
	v_add_f64 v[175:176], v[175:176], v[2:3]
	v_fma_f64 v[2:3], v[52:53], s[26:27], v[177:178]
	v_add_f64 v[2:3], v[2:3], v[0:1]
	v_fma_f64 v[0:1], v[14:15], s[18:19], -v[179:180]
	v_add_f64 v[0:1], v[0:1], v[175:176]
	v_mad_u64_u32 v[175:176], null, s2, v181, 0
	v_mad_u64_u32 v[181:182], null, s3, v181, v[176:177]
	v_mov_b32_e32 v176, v181
	v_add_nc_u32_e32 v181, 0x2be, v92
	v_lshlrev_b64 v[175:176], 4, v[175:176]
	v_add_co_u32 v175, vcc_lo, v86, v175
	v_add_co_ci_u32_e32 v176, vcc_lo, v87, v176, vcc_lo
	global_store_dwordx4 v[175:176], v[0:3], off
	v_fma_f64 v[0:1], v[48:49], s[34:35], v[101:102]
	v_fma_f64 v[2:3], v[36:37], s[36:37], v[97:98]
	v_fma_f64 v[175:176], v[30:31], s[0:1], -v[99:100]
	v_add_f64 v[0:1], v[12:13], v[0:1]
	v_add_f64 v[0:1], v[2:3], v[0:1]
	v_fma_f64 v[2:3], v[46:47], s[16:17], -v[103:104]
	v_add_f64 v[2:3], v[16:17], v[2:3]
	v_add_f64 v[2:3], v[175:176], v[2:3]
	v_fma_f64 v[175:176], v[28:29], s[24:25], v[6:7]
	v_fma_f64 v[6:7], v[28:29], s[14:15], v[6:7]
	v_add_f64 v[0:1], v[175:176], v[0:1]
	v_fma_f64 v[175:176], v[26:27], s[12:13], -v[95:96]
	v_add_f64 v[2:3], v[175:176], v[2:3]
	v_fma_f64 v[175:176], v[22:23], s[38:39], v[4:5]
	v_fma_f64 v[4:5], v[22:23], s[28:29], v[4:5]
	v_add_f64 v[0:1], v[175:176], v[0:1]
	v_fma_f64 v[175:176], v[20:21], s[6:7], -v[93:94]
	v_add_f64 v[2:3], v[175:176], v[2:3]
	v_fma_f64 v[175:176], v[24:25], s[26:27], v[10:11]
	v_add_f64 v[0:1], v[175:176], v[0:1]
	v_fma_f64 v[175:176], v[18:19], s[18:19], -v[8:9]
	v_add_f64 v[175:176], v[175:176], v[2:3]
	;; [unrolled: 4-line block ×3, first 2 shown]
	v_mad_u64_u32 v[175:176], null, s2, v181, 0
	v_mad_u64_u32 v[181:182], null, s3, v181, v[176:177]
	v_mov_b32_e32 v176, v181
	v_lshlrev_b64 v[175:176], 4, v[175:176]
	v_add_co_u32 v175, vcc_lo, v86, v175
	v_add_co_ci_u32_e32 v176, vcc_lo, v87, v176, vcc_lo
	global_store_dwordx4 v[175:176], v[0:3], off
	v_fma_f64 v[0:1], v[48:49], s[20:21], v[101:102]
	v_fma_f64 v[2:3], v[36:37], s[4:5], v[97:98]
	;; [unrolled: 1-line block ×3, first 2 shown]
	v_add_f64 v[0:1], v[12:13], v[0:1]
	v_add_f64 v[0:1], v[2:3], v[0:1]
	v_fma_f64 v[2:3], v[46:47], s[16:17], v[103:104]
	v_add_f64 v[0:1], v[6:7], v[0:1]
	v_add_f64 v[2:3], v[16:17], v[2:3]
	v_fma_f64 v[6:7], v[26:27], s[12:13], v[95:96]
	;; [unrolled: 3-line block ×3, first 2 shown]
	v_add_f64 v[2:3], v[6:7], v[2:3]
	v_fma_f64 v[6:7], v[14:15], s[8:9], v[90:91]
	v_fma_f64 v[90:91], v[14:15], s[6:7], v[155:156]
	v_add_f64 v[2:3], v[4:5], v[2:3]
	v_fma_f64 v[4:5], v[24:25], s[22:23], v[10:11]
	v_add_f64 v[0:1], v[4:5], v[0:1]
	;; [unrolled: 2-line block ×3, first 2 shown]
	v_fma_f64 v[4:5], v[52:53], s[10:11], v[88:89]
	v_fma_f64 v[88:89], v[30:31], s[12:13], v[137:138]
	v_add_f64 v[8:9], v[6:7], v[2:3]
	v_add_f64 v[10:11], v[4:5], v[0:1]
	v_fma_f64 v[0:1], v[48:49], s[14:15], v[151:152]
	v_fma_f64 v[2:3], v[36:37], s[10:11], v[157:158]
	;; [unrolled: 1-line block ×4, first 2 shown]
	v_add_f64 v[0:1], v[12:13], v[0:1]
	v_add_f64 v[0:1], v[2:3], v[0:1]
	v_fma_f64 v[2:3], v[46:47], s[12:13], v[159:160]
	v_add_f64 v[2:3], v[16:17], v[2:3]
	v_add_f64 v[2:3], v[4:5], v[2:3]
	v_fma_f64 v[4:5], v[28:29], s[38:39], v[163:164]
	v_add_f64 v[0:1], v[4:5], v[0:1]
	v_fma_f64 v[4:5], v[26:27], s[6:7], v[165:166]
	v_add_f64 v[2:3], v[4:5], v[2:3]
	v_fma_f64 v[4:5], v[22:23], s[34:35], v[167:168]
	v_add_f64 v[0:1], v[4:5], v[0:1]
	v_fma_f64 v[4:5], v[20:21], s[16:17], v[169:170]
	v_add_f64 v[2:3], v[4:5], v[2:3]
	v_fma_f64 v[4:5], v[24:25], s[4:5], v[171:172]
	v_add_f64 v[0:1], v[4:5], v[0:1]
	v_fma_f64 v[4:5], v[18:19], s[0:1], v[173:174]
	v_add_f64 v[4:5], v[4:5], v[2:3]
	v_fma_f64 v[2:3], v[52:53], s[22:23], v[177:178]
	v_add_f64 v[2:3], v[2:3], v[0:1]
	v_add_f64 v[0:1], v[6:7], v[4:5]
	v_fma_f64 v[4:5], v[48:49], s[22:23], v[127:128]
	v_fma_f64 v[6:7], v[36:37], s[24:25], v[133:134]
	v_add_f64 v[4:5], v[12:13], v[4:5]
	v_add_f64 v[4:5], v[6:7], v[4:5]
	v_fma_f64 v[6:7], v[46:47], s[18:19], v[135:136]
	v_add_f64 v[6:7], v[16:17], v[6:7]
	v_add_f64 v[6:7], v[88:89], v[6:7]
	v_fma_f64 v[88:89], v[28:29], s[4:5], v[139:140]
	v_add_f64 v[4:5], v[88:89], v[4:5]
	v_fma_f64 v[88:89], v[26:27], s[0:1], v[141:142]
	;; [unrolled: 2-line block ×7, first 2 shown]
	v_add_f64 v[6:7], v[6:7], v[4:5]
	v_add_f64 v[4:5], v[90:91], v[88:89]
	v_fma_f64 v[88:89], v[48:49], s[30:31], v[107:108]
	v_fma_f64 v[90:91], v[48:49], s[38:39], v[105:106]
	;; [unrolled: 1-line block ×11, first 2 shown]
	v_add_f64 v[58:59], v[12:13], v[88:89]
	v_add_f64 v[88:89], v[12:13], v[90:91]
	v_add_f64 v[12:13], v[12:13], v[48:49]
	v_add_f64 v[48:49], v[16:17], v[60:61]
	v_add_f64 v[60:61], v[16:17], v[84:85]
	v_add_f64 v[16:17], v[16:17], v[46:47]
	v_add_f64 v[46:47], v[62:63], v[58:59]
	v_fma_f64 v[62:63], v[22:23], s[24:25], v[74:75]
	v_add_f64 v[12:13], v[36:37], v[12:13]
	v_add_f64 v[48:49], v[54:55], v[48:49]
	;; [unrolled: 1-line block ×3, first 2 shown]
	v_fma_f64 v[36:37], v[26:27], s[18:19], v[117:118]
	v_add_f64 v[58:59], v[82:83], v[60:61]
	v_fma_f64 v[60:61], v[26:27], s[16:17], v[76:77]
	v_fma_f64 v[26:27], v[26:27], s[8:9], v[44:45]
	v_add_f64 v[16:17], v[30:31], v[16:17]
	v_fma_f64 v[44:45], v[22:23], s[4:5], v[119:120]
	v_fma_f64 v[22:23], v[22:23], s[22:23], v[50:51]
	;; [unrolled: 1-line block ×3, first 2 shown]
	v_add_f64 v[30:31], v[56:57], v[46:47]
	v_add_f64 v[12:13], v[28:29], v[12:13]
	v_fma_f64 v[28:29], v[20:21], s[0:1], v[121:122]
	v_add_f64 v[46:47], v[80:81], v[54:55]
	v_add_f64 v[36:37], v[36:37], v[48:49]
	v_fma_f64 v[20:21], v[20:21], s[18:19], v[40:41]
	v_add_f64 v[48:49], v[60:61], v[58:59]
	v_fma_f64 v[40:41], v[24:25], s[10:11], v[72:73]
	;; [unrolled: 2-line block ×3, first 2 shown]
	v_fma_f64 v[24:25], v[24:25], s[14:15], v[42:43]
	v_add_f64 v[30:31], v[44:45], v[30:31]
	v_fma_f64 v[44:45], v[18:19], s[8:9], v[68:69]
	v_add_f64 v[12:13], v[22:23], v[12:13]
	v_fma_f64 v[22:23], v[18:19], s[6:7], v[125:126]
	v_fma_f64 v[18:19], v[18:19], s[12:13], v[32:33]
	v_add_f64 v[28:29], v[28:29], v[36:37]
	v_add_f64 v[36:37], v[62:63], v[46:47]
	;; [unrolled: 1-line block ×3, first 2 shown]
	v_fma_f64 v[46:47], v[14:15], s[12:13], v[131:132]
	v_add_f64 v[16:17], v[20:21], v[16:17]
	v_fma_f64 v[48:49], v[14:15], s[0:1], v[66:67]
	v_fma_f64 v[32:33], v[52:53], s[4:5], v[64:65]
	;; [unrolled: 1-line block ×3, first 2 shown]
	v_add_f64 v[14:15], v[26:27], v[30:31]
	v_add_f64 v[24:25], v[24:25], v[12:13]
	;; [unrolled: 1-line block ×4, first 2 shown]
	v_add_nc_u32_e32 v40, 0x333, v92
	v_add_f64 v[28:29], v[44:45], v[42:43]
	v_add_f64 v[36:37], v[18:19], v[16:17]
	v_add_nc_u32_e32 v44, 0x3a8, v92
	v_add_nc_u32_e32 v45, 0x41d, v92
	v_mad_u64_u32 v[30:31], null, s2, v40, 0
	v_mad_u64_u32 v[42:43], null, s2, v45, 0
	v_mov_b32_e32 v12, v31
	v_add_f64 v[14:15], v[20:21], v[14:15]
	v_mad_u64_u32 v[16:17], null, s3, v40, v[12:13]
	v_mad_u64_u32 v[40:41], null, s2, v44, 0
	v_add_f64 v[18:19], v[32:33], v[26:27]
	v_add_f64 v[12:13], v[46:47], v[22:23]
	v_add_nc_u32_e32 v46, 0x492, v92
	v_add_nc_u32_e32 v33, 0x507, v92
	v_mov_b32_e32 v31, v16
	v_add_f64 v[16:17], v[48:49], v[28:29]
	v_mov_b32_e32 v26, v41
	v_add_f64 v[22:23], v[34:35], v[24:25]
	v_mad_u64_u32 v[24:25], null, s2, v46, 0
	v_lshlrev_b64 v[27:28], 4, v[30:31]
	v_mov_b32_e32 v29, v43
	v_add_nc_u32_e32 v34, 0x57c, v92
	v_add_f64 v[20:21], v[38:39], v[36:37]
	v_mad_u64_u32 v[30:31], null, s3, v44, v[26:27]
	v_add_co_u32 v26, vcc_lo, v86, v27
	v_add_co_ci_u32_e32 v27, vcc_lo, v87, v28, vcc_lo
	v_mad_u64_u32 v[31:32], null, s2, v33, 0
	v_mad_u64_u32 v[28:29], null, s3, v45, v[29:30]
	global_store_dwordx4 v[26:27], v[8:11], off
	v_mad_u64_u32 v[9:10], null, s2, v34, 0
	v_mov_b32_e32 v41, v30
	v_mov_b32_e32 v8, v25
	;; [unrolled: 1-line block ×4, first 2 shown]
	v_lshlrev_b64 v[25:26], 4, v[40:41]
	v_mad_u64_u32 v[27:28], null, s3, v46, v[8:9]
	v_mov_b32_e32 v8, v10
	v_mad_u64_u32 v[28:29], null, s3, v33, v[11:12]
	v_add_co_u32 v29, vcc_lo, v86, v25
	v_add_co_ci_u32_e32 v30, vcc_lo, v87, v26, vcc_lo
	v_mov_b32_e32 v25, v27
	v_mad_u64_u32 v[26:27], null, s3, v34, v[8:9]
	v_lshlrev_b64 v[10:11], 4, v[42:43]
	v_mov_b32_e32 v32, v28
	v_lshlrev_b64 v[24:25], 4, v[24:25]
	v_add_co_u32 v27, vcc_lo, v86, v10
	v_mov_b32_e32 v10, v26
	v_lshlrev_b64 v[31:32], 4, v[31:32]
	v_add_co_ci_u32_e32 v28, vcc_lo, v87, v11, vcc_lo
	v_add_co_u32 v24, vcc_lo, v86, v24
	v_lshlrev_b64 v[8:9], 4, v[9:10]
	v_add_co_ci_u32_e32 v25, vcc_lo, v87, v25, vcc_lo
	v_add_co_u32 v10, vcc_lo, v86, v31
	v_add_co_ci_u32_e32 v11, vcc_lo, v87, v32, vcc_lo
	v_add_co_u32 v8, vcc_lo, v86, v8
	v_add_co_ci_u32_e32 v9, vcc_lo, v87, v9, vcc_lo
	global_store_dwordx4 v[29:30], v[0:3], off
	global_store_dwordx4 v[27:28], v[4:7], off
	global_store_dwordx4 v[24:25], v[12:15], off
	global_store_dwordx4 v[10:11], v[16:19], off
	global_store_dwordx4 v[8:9], v[20:23], off
.LBB0_31:
	s_endpgm
	.section	.rodata,"a",@progbits
	.p2align	6, 0x0
	.amdhsa_kernel fft_rtc_fwd_len1521_factors_13_3_3_13_wgs_117_tpt_117_halfLds_dp_ip_CI_sbrr_dirReg
		.amdhsa_group_segment_fixed_size 0
		.amdhsa_private_segment_fixed_size 0
		.amdhsa_kernarg_size 88
		.amdhsa_user_sgpr_count 6
		.amdhsa_user_sgpr_private_segment_buffer 1
		.amdhsa_user_sgpr_dispatch_ptr 0
		.amdhsa_user_sgpr_queue_ptr 0
		.amdhsa_user_sgpr_kernarg_segment_ptr 1
		.amdhsa_user_sgpr_dispatch_id 0
		.amdhsa_user_sgpr_flat_scratch_init 0
		.amdhsa_user_sgpr_private_segment_size 0
		.amdhsa_wavefront_size32 1
		.amdhsa_uses_dynamic_stack 0
		.amdhsa_system_sgpr_private_segment_wavefront_offset 0
		.amdhsa_system_sgpr_workgroup_id_x 1
		.amdhsa_system_sgpr_workgroup_id_y 0
		.amdhsa_system_sgpr_workgroup_id_z 0
		.amdhsa_system_sgpr_workgroup_info 0
		.amdhsa_system_vgpr_workitem_id 0
		.amdhsa_next_free_vgpr 183
		.amdhsa_next_free_sgpr 46
		.amdhsa_reserve_vcc 1
		.amdhsa_reserve_flat_scratch 0
		.amdhsa_float_round_mode_32 0
		.amdhsa_float_round_mode_16_64 0
		.amdhsa_float_denorm_mode_32 3
		.amdhsa_float_denorm_mode_16_64 3
		.amdhsa_dx10_clamp 1
		.amdhsa_ieee_mode 1
		.amdhsa_fp16_overflow 0
		.amdhsa_workgroup_processor_mode 1
		.amdhsa_memory_ordered 1
		.amdhsa_forward_progress 0
		.amdhsa_shared_vgpr_count 0
		.amdhsa_exception_fp_ieee_invalid_op 0
		.amdhsa_exception_fp_denorm_src 0
		.amdhsa_exception_fp_ieee_div_zero 0
		.amdhsa_exception_fp_ieee_overflow 0
		.amdhsa_exception_fp_ieee_underflow 0
		.amdhsa_exception_fp_ieee_inexact 0
		.amdhsa_exception_int_div_zero 0
	.end_amdhsa_kernel
	.text
.Lfunc_end0:
	.size	fft_rtc_fwd_len1521_factors_13_3_3_13_wgs_117_tpt_117_halfLds_dp_ip_CI_sbrr_dirReg, .Lfunc_end0-fft_rtc_fwd_len1521_factors_13_3_3_13_wgs_117_tpt_117_halfLds_dp_ip_CI_sbrr_dirReg
                                        ; -- End function
	.section	.AMDGPU.csdata,"",@progbits
; Kernel info:
; codeLenInByte = 14908
; NumSgprs: 48
; NumVgprs: 183
; ScratchSize: 0
; MemoryBound: 1
; FloatMode: 240
; IeeeMode: 1
; LDSByteSize: 0 bytes/workgroup (compile time only)
; SGPRBlocks: 5
; VGPRBlocks: 22
; NumSGPRsForWavesPerEU: 48
; NumVGPRsForWavesPerEU: 183
; Occupancy: 5
; WaveLimiterHint : 1
; COMPUTE_PGM_RSRC2:SCRATCH_EN: 0
; COMPUTE_PGM_RSRC2:USER_SGPR: 6
; COMPUTE_PGM_RSRC2:TRAP_HANDLER: 0
; COMPUTE_PGM_RSRC2:TGID_X_EN: 1
; COMPUTE_PGM_RSRC2:TGID_Y_EN: 0
; COMPUTE_PGM_RSRC2:TGID_Z_EN: 0
; COMPUTE_PGM_RSRC2:TIDIG_COMP_CNT: 0
	.text
	.p2alignl 6, 3214868480
	.fill 48, 4, 3214868480
	.type	__hip_cuid_ed550f5eb1c3ce74,@object ; @__hip_cuid_ed550f5eb1c3ce74
	.section	.bss,"aw",@nobits
	.globl	__hip_cuid_ed550f5eb1c3ce74
__hip_cuid_ed550f5eb1c3ce74:
	.byte	0                               ; 0x0
	.size	__hip_cuid_ed550f5eb1c3ce74, 1

	.ident	"AMD clang version 19.0.0git (https://github.com/RadeonOpenCompute/llvm-project roc-6.4.0 25133 c7fe45cf4b819c5991fe208aaa96edf142730f1d)"
	.section	".note.GNU-stack","",@progbits
	.addrsig
	.addrsig_sym __hip_cuid_ed550f5eb1c3ce74
	.amdgpu_metadata
---
amdhsa.kernels:
  - .args:
      - .actual_access:  read_only
        .address_space:  global
        .offset:         0
        .size:           8
        .value_kind:     global_buffer
      - .offset:         8
        .size:           8
        .value_kind:     by_value
      - .actual_access:  read_only
        .address_space:  global
        .offset:         16
        .size:           8
        .value_kind:     global_buffer
      - .actual_access:  read_only
        .address_space:  global
        .offset:         24
        .size:           8
        .value_kind:     global_buffer
      - .offset:         32
        .size:           8
        .value_kind:     by_value
      - .actual_access:  read_only
        .address_space:  global
        .offset:         40
        .size:           8
        .value_kind:     global_buffer
      - .actual_access:  read_only
        .address_space:  global
        .offset:         48
        .size:           8
        .value_kind:     global_buffer
      - .offset:         56
        .size:           4
        .value_kind:     by_value
      - .actual_access:  read_only
        .address_space:  global
        .offset:         64
        .size:           8
        .value_kind:     global_buffer
      - .actual_access:  read_only
        .address_space:  global
        .offset:         72
        .size:           8
        .value_kind:     global_buffer
      - .address_space:  global
        .offset:         80
        .size:           8
        .value_kind:     global_buffer
    .group_segment_fixed_size: 0
    .kernarg_segment_align: 8
    .kernarg_segment_size: 88
    .language:       OpenCL C
    .language_version:
      - 2
      - 0
    .max_flat_workgroup_size: 117
    .name:           fft_rtc_fwd_len1521_factors_13_3_3_13_wgs_117_tpt_117_halfLds_dp_ip_CI_sbrr_dirReg
    .private_segment_fixed_size: 0
    .sgpr_count:     48
    .sgpr_spill_count: 0
    .symbol:         fft_rtc_fwd_len1521_factors_13_3_3_13_wgs_117_tpt_117_halfLds_dp_ip_CI_sbrr_dirReg.kd
    .uniform_work_group_size: 1
    .uses_dynamic_stack: false
    .vgpr_count:     183
    .vgpr_spill_count: 0
    .wavefront_size: 32
    .workgroup_processor_mode: 1
amdhsa.target:   amdgcn-amd-amdhsa--gfx1030
amdhsa.version:
  - 1
  - 2
...

	.end_amdgpu_metadata
